;; amdgpu-corpus repo=ROCm/Tensile kind=harvested arch=n/a opt=n/a

/******************************************/
/* Function Prefix                        */
/******************************************/



/******************************************/
/* Begin Kernel                           */
/******************************************/

// Component.Signature.SignatureDefault
.amdgcn_target "amdgcn-amd-amdhsa--gfx908"
.text
.protected Cijk_Alik_Bljk_HHS_BH_MT144x256x64_MI16x16x16x1_SE_1LDSB1_APM1_AF0EM8_AF1EM1_AMAS0_ASE_ASAE01_ASCE01_ASEM1_BL1_DTLA0_DTLB0_DVO0_EPS1_FL0_GLVWA2_GLVWB2_GRVW2_GSU1_GSUASB_ISA908_IU1_K1_KLA_LBSPPA128_LBSPPB128_LPA16_LPB16_LDL1_LRVW8_LDW0_MAC_MDA2_MMFGLC_NTC0_NTD0_NEPBS0_NLCA1_NLCB1_ONLL1_OPLV0_PK0_PAP0_PGR1_PLR5_SIA3_SS0_SU32_SUM0_SUS128_SPO0_SRVW0_SSO0_SVW4_SNLL0_TT9_64_TLDS1_UMLDSA1_UMLDSB1_USFGROn1_VAW2_VSn1_VW1_VWB2_WSGRA1_WSGRB1_WG16_16_1_WGM15
.globl Cijk_Alik_Bljk_HHS_BH_MT144x256x64_MI16x16x16x1_SE_1LDSB1_APM1_AF0EM8_AF1EM1_AMAS0_ASE_ASAE01_ASCE01_ASEM1_BL1_DTLA0_DTLB0_DVO0_EPS1_FL0_GLVWA2_GLVWB2_GRVW2_GSU1_GSUASB_ISA908_IU1_K1_KLA_LBSPPA128_LBSPPB128_LPA16_LPB16_LDL1_LRVW8_LDW0_MAC_MDA2_MMFGLC_NTC0_NTD0_NEPBS0_NLCA1_NLCB1_ONLL1_OPLV0_PK0_PAP0_PGR1_PLR5_SIA3_SS0_SU32_SUM0_SUS128_SPO0_SRVW0_SSO0_SVW4_SNLL0_TT9_64_TLDS1_UMLDSA1_UMLDSB1_USFGROn1_VAW2_VSn1_VW1_VWB2_WSGRA1_WSGRB1_WG16_16_1_WGM15
.p2align 8
.type Cijk_Alik_Bljk_HHS_BH_MT144x256x64_MI16x16x16x1_SE_1LDSB1_APM1_AF0EM8_AF1EM1_AMAS0_ASE_ASAE01_ASCE01_ASEM1_BL1_DTLA0_DTLB0_DVO0_EPS1_FL0_GLVWA2_GLVWB2_GRVW2_GSU1_GSUASB_ISA908_IU1_K1_KLA_LBSPPA128_LBSPPB128_LPA16_LPB16_LDL1_LRVW8_LDW0_MAC_MDA2_MMFGLC_NTC0_NTD0_NEPBS0_NLCA1_NLCB1_ONLL1_OPLV0_PK0_PAP0_PGR1_PLR5_SIA3_SS0_SU32_SUM0_SUS128_SPO0_SRVW0_SSO0_SVW4_SNLL0_TT9_64_TLDS1_UMLDSA1_UMLDSB1_USFGROn1_VAW2_VSn1_VW1_VWB2_WSGRA1_WSGRB1_WG16_16_1_WGM15,@function
.section .rodata,#alloc
.p2align 6
.amdhsa_kernel Cijk_Alik_Bljk_HHS_BH_MT144x256x64_MI16x16x16x1_SE_1LDSB1_APM1_AF0EM8_AF1EM1_AMAS0_ASE_ASAE01_ASCE01_ASEM1_BL1_DTLA0_DTLB0_DVO0_EPS1_FL0_GLVWA2_GLVWB2_GRVW2_GSU1_GSUASB_ISA908_IU1_K1_KLA_LBSPPA128_LBSPPB128_LPA16_LPB16_LDL1_LRVW8_LDW0_MAC_MDA2_MMFGLC_NTC0_NTD0_NEPBS0_NLCA1_NLCB1_ONLL1_OPLV0_PK0_PAP0_PGR1_PLR5_SIA3_SS0_SU32_SUM0_SUS128_SPO0_SRVW0_SSO0_SVW4_SNLL0_TT9_64_TLDS1_UMLDSA1_UMLDSB1_USFGROn1_VAW2_VSn1_VW1_VWB2_WSGRA1_WSGRB1_WG16_16_1_WGM15
  .amdhsa_user_sgpr_kernarg_segment_ptr 1
  .amdhsa_user_sgpr_count 2
  .amdhsa_next_free_vgpr 256 // vgprs
  .amdhsa_next_free_sgpr 63 // sgprs
  .amdhsa_group_segment_fixed_size 64000 // lds bytes
  .amdhsa_private_segment_fixed_size 0
  .amdhsa_system_sgpr_workgroup_id_x 1
  .amdhsa_system_sgpr_workgroup_id_y 1
  .amdhsa_system_sgpr_workgroup_id_z 1
  .amdhsa_system_vgpr_workitem_id 0
  .amdhsa_float_denorm_mode_32 3
  .amdhsa_float_denorm_mode_16_64 3
.end_amdhsa_kernel
.text

/******************************************/
/* Optimizations and Config:              */
/******************************************/
/* ThreadTile= 36 x 4 */
/* SubGroup= 4 x 64 */
/* VectorWidthA=1 */
/* VectorWidthB=2 */
/* GlobalLoadVectorWidthA=2, GlobalLoadVectorWidthB=2 */
/* DirectToLdsA=False */
/* DirectToLdsB=False */
/* UseSgprForGRO=0 */
.amdgpu_metadata
---
amdhsa.version:
  - 1
  - 1
amdhsa.target: amdgcn-amd-amdhsa--gfx908
amdhsa.kernels:
  - .name: Cijk_Alik_Bljk_HHS_BH_MT144x256x64_MI16x16x16x1_SE_1LDSB1_APM1_AF0EM8_AF1EM1_AMAS0_ASE_ASAE01_ASCE01_ASEM1_BL1_DTLA0_DTLB0_DVO0_EPS1_FL0_GLVWA2_GLVWB2_GRVW2_GSU1_GSUASB_ISA908_IU1_K1_KLA_LBSPPA128_LBSPPB128_LPA16_LPB16_LDL1_LRVW8_LDW0_MAC_MDA2_MMFGLC_NTC0_NTD0_NEPBS0_NLCA1_NLCB1_ONLL1_OPLV0_PK0_PAP0_PGR1_PLR5_SIA3_SS0_SU32_SUM0_SUS128_SPO0_SRVW0_SSO0_SVW4_SNLL0_TT9_64_TLDS1_UMLDSA1_UMLDSB1_USFGROn1_VAW2_VSn1_VW1_VWB2_WSGRA1_WSGRB1_WG16_16_1_WGM15
    .symbol: 'Cijk_Alik_Bljk_HHS_BH_MT144x256x64_MI16x16x16x1_SE_1LDSB1_APM1_AF0EM8_AF1EM1_AMAS0_ASE_ASAE01_ASCE01_ASEM1_BL1_DTLA0_DTLB0_DVO0_EPS1_FL0_GLVWA2_GLVWB2_GRVW2_GSU1_GSUASB_ISA908_IU1_K1_KLA_LBSPPA128_LBSPPB128_LPA16_LPB16_LDL1_LRVW8_LDW0_MAC_MDA2_MMFGLC_NTC0_NTD0_NEPBS0_NLCA1_NLCB1_ONLL1_OPLV0_PK0_PAP0_PGR1_PLR5_SIA3_SS0_SU32_SUM0_SUS128_SPO0_SRVW0_SSO0_SVW4_SNLL0_TT9_64_TLDS1_UMLDSA1_UMLDSB1_USFGROn1_VAW2_VSn1_VW1_VWB2_WSGRA1_WSGRB1_WG16_16_1_WGM15.kd'
    .language:                   OpenCL C
    .language_version:
      - 2
      - 0
    .args:
      - .name:            Tensor2dSizeA
        .size:            8
        .offset:          0
        .value_kind:      by_value
        .value_type:      u64
      - .name:            Tensor2dSizeB
        .size:            8
        .offset:          8
        .value_kind:      by_value
        .value_type:      u64
      - .name:            AddressD
        .size:            8
        .offset:          16
        .value_kind:      by_value
        .value_type:      u64
      - .name:            AddressC
        .size:            8
        .offset:          24
        .value_kind:      by_value
        .value_type:      u64
      - .name:            AddressA
        .size:            8
        .offset:          32
        .value_kind:      by_value
        .value_type:      u64
      - .name:            AddressB
        .size:            8
        .offset:          40
        .value_kind:      by_value
        .value_type:      u64
      - .name:            Alpha
        .size:            4
        .offset:          48
        .value_kind:      by_value
        .value_type:      u32
      - .name:            Beta
        .size:            4
        .offset:          52
        .value_kind:      by_value
        .value_type:      u32
      - .name:            StridesD
        .size:            8
        .offset:          56
        .value_kind:      by_value
        .value_type:      u64
      - .name:            StridesC
        .size:            8
        .offset:          64
        .value_kind:      by_value
        .value_type:      u64
      - .name:            StridesA
        .size:            8
        .offset:          72
        .value_kind:      by_value
        .value_type:      u64
      - .name:            StridesB
        .size:            8
        .offset:          80
        .value_kind:      by_value
        .value_type:      u64
      - .name:            SizesFree
        .size:            12
        .offset:          88
        .value_kind:      by_value
        .value_type:      u96
      - .name:            SizesSum
        .size:            4
        .offset:          100
        .value_kind:      by_value
        .value_type:      u32
      - .name:            OrigStaggerUIter
        .size:            4
        .offset:          104
        .value_kind:      by_value
        .value_type:      u32
      - .name:            NumWorkGroups0
        .size:            4
        .offset:          108
        .value_kind:      by_value
        .value_type:      u32
      - .name:            NumWorkGroups1
        .size:            4
        .offset:          112
        .value_kind:      by_value
        .value_type:      u32
      - .name:            NumFullBlocks
        .size:            4
        .offset:          116
        .value_kind:      by_value
        .value_type:      u32
      - .name:            WgmRemainder1
        .size:            4
        .offset:          120
        .value_kind:      by_value
        .value_type:      u32
      - .name:            MagicNumberWgmRemainder1
        .size:            4
        .offset:          124
        .value_kind:      by_value
        .value_type:      u32
    .group_segment_fixed_size:   64000
    .kernarg_segment_align:      8
    .kernarg_segment_size:       128
    .max_flat_workgroup_size:    256
    .private_segment_fixed_size: 0
    .sgpr_count:                 63
    .sgpr_spill_count:           0
    .vgpr_count:                 256
    .vgpr_spill_count:           0
    .wavefront_size:             64
...
.end_amdgpu_metadata
Cijk_Alik_Bljk_HHS_BH_MT144x256x64_MI16x16x16x1_SE_1LDSB1_APM1_AF0EM8_AF1EM1_AMAS0_ASE_ASAE01_ASCE01_ASEM1_BL1_DTLA0_DTLB0_DVO0_EPS1_FL0_GLVWA2_GLVWB2_GRVW2_GSU1_GSUASB_ISA908_IU1_K1_KLA_LBSPPA128_LBSPPB128_LPA16_LPB16_LDL1_LRVW8_LDW0_MAC_MDA2_MMFGLC_NTC0_NTD0_NEPBS0_NLCA1_NLCB1_ONLL1_OPLV0_PK0_PAP0_PGR1_PLR5_SIA3_SS0_SU32_SUM0_SUS128_SPO0_SRVW0_SSO0_SVW4_SNLL0_TT9_64_TLDS1_UMLDSA1_UMLDSB1_USFGROn1_VAW2_VSn1_VW1_VWB2_WSGRA1_WSGRB1_WG16_16_1_WGM15:

/******************************************/
/* Asm syntax workarounds                 */
/******************************************/
.macro _v_add_co_u32 dst:req, cc:req, src0:req, src1:req, dpp=
   v_add_co_u32 \dst, \cc, \src0, \src1 \dpp
.endm

.macro _v_add_u32 dst:req, src0:req, src1:req, dpp=
   v_add_u32 \dst, \src0, \src1 \dpp
.endm

.macro _v_add_i32 dst:req, src0:req, src1:req, dpp=
   v_add_i32 \dst, \src0, \src1 \dpp
.endm

.macro _v_addc_co_u32 dst:req, ccOut:req, src0:req, ccIn:req, src1:req, dpp=
   v_addc_co_u32 \dst, \ccOut, \src0, \ccIn, \src1 \dpp
.endm

.macro _v_sub_co_u32 dst:req, cc:req, src0:req, src1:req, dpp=
   v_sub_co_u32 \dst, \cc, \src0, \src1 \dpp
.endm

.macro _v_sub_u32 dst:req, src0:req, src1:req, dpp=
   v_sub_u32 \dst, \src0, \src1 \dpp
.endm

.macro _v_sub_i32 dst:req, src0:req, src1:req, dpp=
   v_sub_i32 \dst, \src0, \src1 \dpp
.endm

.macro _v_add_lshl_u32 dst:req, src0:req, src1:req, shiftCnt:req
    v_add_lshl_u32 \dst, \src0, \src1, \shiftCnt
.endm

.macro _v_lshl_add_u32 dst:req, src0:req, src1:req, shiftCnt:req
    v_lshl_add_u32 \dst, \src0, \src1, \shiftCnt
.endm

.macro _v_lshl_or_b32 dst:req, src0:req, shiftCnt:req, src1:req
    v_lshl_or_b32 \dst, \src0, \shiftCnt, \src1
.endm

.macro _v_dot2acc_f32_f16 dst, src0, src1
v_dot2c_f32_f16 \dst, \src0, \src1
.endm

.macro _v_cmpx_lt_i16 dst, src0, src1=
   v_cmpx_lt_i16 \dst, \src0, \src1 
.endm

.macro _v_cmpx_lt_i32 dst, src0, src1=
   v_cmpx_lt_i32 \dst, \src0, \src1 
.endm

.macro _v_cmpx_lt_i64 dst, src0, src1=
   v_cmpx_lt_i64 \dst, \src0, \src1 
.endm

.macro _v_cmpx_lt_u16 dst, src0, src1=
   v_cmpx_lt_u16 \dst, \src0, \src1 
.endm

.macro _v_cmpx_lt_u32 dst, src0, src1=
   v_cmpx_lt_u32 \dst, \src0, \src1 
.endm

.macro _v_cmpx_lt_u64 dst, src0, src1=
   v_cmpx_lt_u64 \dst, \src0, \src1 
.endm

.macro _v_cmpx_eq_i16 dst, src0, src1=
   v_cmpx_eq_i16 \dst, \src0, \src1 
.endm

.macro _v_cmpx_eq_i32 dst, src0, src1=
   v_cmpx_eq_i32 \dst, \src0, \src1 
.endm

.macro _v_cmpx_eq_i64 dst, src0, src1=
   v_cmpx_eq_i64 \dst, \src0, \src1 
.endm

.macro _v_cmpx_eq_u16 dst, src0, src1=
   v_cmpx_eq_u16 \dst, \src0, \src1 
.endm

.macro _v_cmpx_eq_u32 dst, src0, src1=
   v_cmpx_eq_u32 \dst, \src0, \src1 
.endm

.macro _v_cmpx_eq_u64 dst, src0, src1=
   v_cmpx_eq_u64 \dst, \src0, \src1 
.endm

.macro _v_cmpx_le_i16 dst, src0, src1=
   v_cmpx_le_i16 \dst, \src0, \src1 
.endm

.macro _v_cmpx_le_i32 dst, src0, src1=
   v_cmpx_le_i32 \dst, \src0, \src1 
.endm

.macro _v_cmpx_le_i64 dst, src0, src1=
   v_cmpx_le_i64 \dst, \src0, \src1 
.endm

.macro _v_cmpx_le_u16 dst, src0, src1=
   v_cmpx_le_u16 \dst, \src0, \src1 
.endm

.macro _v_cmpx_le_u32 dst, src0, src1=
   v_cmpx_le_u32 \dst, \src0, \src1 
.endm

.macro _v_cmpx_le_u64 dst, src0, src1=
   v_cmpx_le_u64 \dst, \src0, \src1 
.endm

.macro _v_cmpx_gt_i16 dst, src0, src1=
   v_cmpx_gt_i16 \dst, \src0, \src1 
.endm

.macro _v_cmpx_gt_i32 dst, src0, src1=
   v_cmpx_gt_i32 \dst, \src0, \src1 
.endm

.macro _v_cmpx_gt_i64 dst, src0, src1=
   v_cmpx_gt_i64 \dst, \src0, \src1 
.endm

.macro _v_cmpx_gt_u16 dst, src0, src1=
   v_cmpx_gt_u16 \dst, \src0, \src1 
.endm

.macro _v_cmpx_gt_u32 dst, src0, src1=
   v_cmpx_gt_u32 \dst, \src0, \src1 
.endm

.macro _v_cmpx_gt_u64 dst, src0, src1=
   v_cmpx_gt_u64 \dst, \src0, \src1 
.endm

.macro _v_cmpx_ne_i16 dst, src0, src1=
   v_cmpx_ne_i16 \dst, \src0, \src1 
.endm

.macro _v_cmpx_ne_i32 dst, src0, src1=
   v_cmpx_ne_i32 \dst, \src0, \src1 
.endm

.macro _v_cmpx_ne_i64 dst, src0, src1=
   v_cmpx_ne_i64 \dst, \src0, \src1 
.endm

.macro _v_cmpx_ne_u16 dst, src0, src1=
   v_cmpx_ne_u16 \dst, \src0, \src1 
.endm

.macro _v_cmpx_ne_u32 dst, src0, src1=
   v_cmpx_ne_u32 \dst, \src0, \src1 
.endm

.macro _v_cmpx_ne_u64 dst, src0, src1=
   v_cmpx_ne_u64 \dst, \src0, \src1 
.endm

.macro _v_cmpx_lg_i16 dst, src0, src1=
   v_cmpx_lg_i16 \dst, \src0, \src1 
.endm

.macro _v_cmpx_lg_i32 dst, src0, src1=
   v_cmpx_lg_i32 \dst, \src0, \src1 
.endm

.macro _v_cmpx_lg_i64 dst, src0, src1=
   v_cmpx_lg_i64 \dst, \src0, \src1 
.endm

.macro _v_cmpx_lg_u16 dst, src0, src1=
   v_cmpx_lg_u16 \dst, \src0, \src1 
.endm

.macro _v_cmpx_lg_u32 dst, src0, src1=
   v_cmpx_lg_u32 \dst, \src0, \src1 
.endm

.macro _v_cmpx_lg_u64 dst, src0, src1=
   v_cmpx_lg_u64 \dst, \src0, \src1 
.endm

.macro _v_cmpx_ge_i16 dst, src0, src1=
   v_cmpx_ge_i16 \dst, \src0, \src1 
.endm

.macro _v_cmpx_ge_i32 dst, src0, src1=
   v_cmpx_ge_i32 \dst, \src0, \src1 
.endm

.macro _v_cmpx_ge_i64 dst, src0, src1=
   v_cmpx_ge_i64 \dst, \src0, \src1 
.endm

.macro _v_cmpx_ge_u16 dst, src0, src1=
   v_cmpx_ge_u16 \dst, \src0, \src1 
.endm

.macro _v_cmpx_ge_u32 dst, src0, src1=
   v_cmpx_ge_u32 \dst, \src0, \src1 
.endm

.macro _v_cmpx_ge_u64 dst, src0, src1=
   v_cmpx_ge_u64 \dst, \src0, \src1 
.endm

.macro _v_cmpx_o_i16 dst, src0, src1=
   v_cmpx_o_i16 \dst, \src0, \src1 
.endm

.macro _v_cmpx_o_i32 dst, src0, src1=
   v_cmpx_o_i32 \dst, \src0, \src1 
.endm

.macro _v_cmpx_o_i64 dst, src0, src1=
   v_cmpx_o_i64 \dst, \src0, \src1 
.endm

.macro _v_cmpx_o_u16 dst, src0, src1=
   v_cmpx_o_u16 \dst, \src0, \src1 
.endm

.macro _v_cmpx_o_u32 dst, src0, src1=
   v_cmpx_o_u32 \dst, \src0, \src1 
.endm

.macro _v_cmpx_o_u64 dst, src0, src1=
   v_cmpx_o_u64 \dst, \src0, \src1 
.endm

.macro _v_cmpx_u_i16 dst, src0, src1=
   v_cmpx_u_i16 \dst, \src0, \src1 
.endm

.macro _v_cmpx_u_i32 dst, src0, src1=
   v_cmpx_u_i32 \dst, \src0, \src1 
.endm

.macro _v_cmpx_u_i64 dst, src0, src1=
   v_cmpx_u_i64 \dst, \src0, \src1 
.endm

.macro _v_cmpx_u_u16 dst, src0, src1=
   v_cmpx_u_u16 \dst, \src0, \src1 
.endm

.macro _v_cmpx_u_u32 dst, src0, src1=
   v_cmpx_u_u32 \dst, \src0, \src1 
.endm

.macro _v_cmpx_u_u64 dst, src0, src1=
   v_cmpx_u_u64 \dst, \src0, \src1 
.endm
.macro _v_mac_f32 c:req, a:req, b:req
    v_mac_f32 \c, \a, \b
.endmacro

/* scale global load macros */
.macro _s_load_b32 dst base offset
    s_load_dword \dst \base \offset
.endm

.macro _s_load_b64 dst base offset
    s_load_dwordx2 \dst \base \offset
.endm

.macro _s_load_b128 dst base offset
    s_load_dwordx4 \dst \base \offset
.endm

.macro _s_load_b256 dst base offset
    s_load_dwordx8 \dst \base \offset
.endm

.macro _s_load_b512 dst base offset
    s_load_dwordx16 \dst \base \offset
.endm


/* ds operation macros */
.macro _ds_load_u8 dst src offset
    ds_read_u8 \dst \src \offset
.endm

.macro _ds_load_u8_d16_hi dst src offset
    ds_read_u8_d16_hi \dst \src \offset
.endm

.macro _ds_load_u16 dst src offset
    ds_read_u16 \dst \src \offset
.endm

.macro _ds_load_u16_d16_hi dst src offset
    ds_read_u16_d16_hi \dst \src \offset
.endm

.macro _ds_load_b32 dst src offset
    ds_read_b32 \dst \src \offset
.endm

.macro _ds_load_b64 dst src offset
    ds_read_b64 \dst \src \offset
.endm

.macro _ds_load_b128 dst src offset
    ds_read_b128 \dst \src \offset
.endm

.macro _ds_store_b8 dst src offset
    ds_write_b8 \dst \src \offset
.endm

.macro _ds_store_b8_d16_hi dst src offset
    ds_write_b8_d16_hi \dst \src \offset
.endm

.macro _ds_store_b16 dst src offset
    ds_write_b16 \dst \src \offset
.endm

.macro _ds_store_b16_d16_hi dst src offset
    ds_write_b16_d16_hi \dst \src \offset
.endm

.macro _ds_store_b32 dst src offset
    ds_write_b32 \dst \src \offset
.endm

.macro _ds_store_b64 dst src offset
    ds_write_b64 \dst \src \offset
.endm

.macro _ds_store_b128 dst src offset
    ds_write_b128 \dst \src \offset
.endm

.macro _ds_load2_b32 dst src offset1 offset2
    ds_read2_b32 \dst \src \offset1 \offset2
.endm

.macro _ds_load2_b64 dst src offset1 offset2
    ds_read2_b64 \dst \src \offset1 \offset2
.endm

.macro _ds_store2_b32 dst src offset1 offset2
    ds_write2_b32 \dst \src \offset1 \offset2
.endm

.macro _ds_store2_b64 dst src offset1 offset2
    ds_write2_b64 \dst \src \offset1 \offset2
.endm


/* buffer memory operation macros */
.macro _buffer_load_b32 dst voffset base soffset offen ioffset md0 md1 md2
    buffer_load_dword \dst \voffset \base \soffset \offen \ioffset \md0 \md1 \md2
.endm

.macro _buffer_load_b64 dst voffset base soffset offen ioffset md0 md1 md2
    buffer_load_dwordx2 \dst \voffset \base \soffset \offen \ioffset \md0 \md1 \md2
.endm

.macro _buffer_load_b96 dst voffset base soffset offen ioffset md0 md1 md2
    buffer_load_dwordx3 \dst \voffset \base \soffset \offen \ioffset \md0 \md1 \md2
.endm

.macro _buffer_load_b128 dst voffset base soffset offen ioffset md0 md1 md2
    buffer_load_dwordx4 \dst \voffset \base \soffset \offen \ioffset \md0 \md1 \md2
.endm

.macro _buffer_load_d16_b16 dst voffset base soffset offen ioffset md0 md1 md2
    buffer_load_short_d16 \dst \voffset \base \soffset \offen \ioffset \md0 \md1 \md2
.endm

.macro _buffer_load_d16_hi_b16 dst voffset base soffset offen ioffset md0 md1 md2
    buffer_load_short_d16_hi \dst \voffset \base \soffset \offen \ioffset \md0 \md1 \md2
.endm

.macro _buffer_load_d16_u8 dst voffset base soffset offen ioffset md0 md1 md2
    buffer_load_ubyte_d16 \dst \voffset \base \soffset \offen \ioffset \md0 \md1 \md2
.endm

.macro _buffer_load_d16_hi_u8 dst voffset base soffset offen ioffset md0 md1 md2
    buffer_load_ubyte_d16_hi \dst \voffset \base \soffset \offen \ioffset \md0 \md1 \md2
.endm

.macro _buffer_load_u16 dst voffset base soffset offen ioffset md0 md1 md2
    buffer_load_ushort \dst \voffset \base \soffset \offen \ioffset \md0 \md1 \md2
.endm

.macro _buffer_load_b32_dtl voffset base soffset offen ioffset md0 md1 md2
    buffer_load_dword \voffset \base \soffset \offen \ioffset \md0 \md1 \md2
.endm

.macro _buffer_load_b64_dtl voffset base soffset offen ioffset md0 md1 md2
    buffer_load_dwordx2 \voffset \base \soffset \offen \ioffset \md0 \md1 \md2
.endm

.macro _buffer_load_b128_dtl voffset base soffset offen ioffset md0 md1 md2
    buffer_load_dwordx4 \voffset \base \soffset \offen \ioffset \md0 \md1 \md2
.endm

.macro _buffer_load_u16_dtl voffset base soffset offen ioffset md0 md1 md2
    buffer_load_ushort \voffset \base \soffset \offen \ioffset \md0 \md1 \md2
.endm

.macro _buffer_store_b32 src voffset base soffset offen ioffset md0 md1 md2
    buffer_store_dword \src \voffset \base \soffset \offen \ioffset \md0 \md1 \md2
.endm

.macro _buffer_store_b64 src voffset base soffset offen ioffset md0 md1 md2
    buffer_store_dwordx2 \src \voffset \base \soffset \offen \ioffset \md0 \md1 \md2
.endm

.macro _buffer_store_b96 src voffset base soffset offen ioffset md0 md1 md2
    buffer_store_dwordx3 \src \voffset \base \soffset \offen \ioffset \md0 \md1 \md2
.endm

.macro _buffer_store_b128 src voffset base soffset offen ioffset md0 md1 md2
    buffer_store_dwordx4 \src \voffset \base \soffset \offen \ioffset \md0 \md1 \md2
.endm

.macro _buffer_store_b16 src voffset base soffset offen ioffset md0 md1 md2
    buffer_store_short \src \voffset \base \soffset \offen \ioffset \md0 \md1 \md2
.endm

.macro _buffer_store_d16_hi_b16 src voffset base soffset offen ioffset md0 md1 md2
    buffer_store_short_d16_hi \src \voffset \base \soffset \offen \ioffset \md0 \md1 \md2
.endm

.macro _buffer_store_b8 src voffset base soffset offen ioffset md0 md1 md2
    buffer_store_byte \src \voffset \base \soffset \offen \ioffset \md0 \md1 \md2
.endm

.macro _buffer_store_d16_hi_b8 src voffset base soffset offen ioffset md0 md1 md2
    buffer_store_byte_d16_hi \src \voffset \base \soffset \offen \ioffset \md0 \md1 \md2
.endm

.macro _buffer_atomic_cmpswap_b32 dst voffset base soffset offen ioffset md0 md1 md2
    buffer_atomic_cmpswap \dst \voffset \base \soffset \offen \ioffset \md0 \md1 \md2
.endm

.macro _buffer_atomic_cmpswap_b64 dst voffset base soffset offen ioffset md0 md1 md2
    buffer_atomic_cmpswap_x2 \dst \voffset \base \soffset \offen \ioffset \md0 \md1 \md2
.endm


/* buffer memory operation macros */
.macro _global_load_b32 dst base src ioffset md0 md1 md2
    global_load_dword \dst \base \src \ioffset \md0 \md1 \md2
.endm

.macro _global_load_b64 dst base src ioffset md0 md1 md2
    global_load_dwordx2 \dst \base \src \ioffset \md0 \md1 \md2
.endm

.macro _global_load_b96 dst base src ioffset md0 md1 md2
    global_load_dwordx3 \dst \base \src \ioffset \md0 \md1 \md2
.endm

.macro _global_load_b128 dst base src ioffset md0 md1 md2
    global_load_dwordx4 \dst \base \src \ioffset \md0 \md1 \md2
.endm

.macro _global_load_d16_b16 dst base src ioffset md0 md1 md2
    global_load_short_d16 \dst \base \src \ioffset \md0 \md1 \md2
.endm

.macro _global_load_d16_hi_b16 dst base src ioffset md0 md1 md2
    global_load_short_d16_hi \dst \base \src \ioffset \md0 \md1 \md2
.endm

.macro _global_load_d16_u8 dst base src ioffset md0 md1 md2
    global_load_ubyte_d16 \dst \base \src \ioffset \md0 \md1 \md2
.endm

.macro _global_load_d16_hi_u8 dst base src ioffset md0 md1 md2
    global_load_ubyte_d16_hi \dst \base \src \ioffset \md0 \md1 \md2
.endm

.macro _global_load_u16 dst base src ioffset md0 md1 md2
    global_load_ushort \dst \base \src \ioffset \md0 \md1 \md2
.endm

.macro _global_store_b32 base src src2 md0 md1 md2
    global_store_dword \base \src \src2 \md0 \md1 \md2
.endm

.macro _global_store_b64 base src src2 md0 md1 md2
    global_store_dwordx2 \base \src \src2 \md0 \md1 \md2
.endm

.macro _global_store_b96 base src src2 md0 md1 md2
    global_store_dwordx3 \base \src \src2 \md0 \md1 \md2
.endm

.macro _global_store_b128 base src src2 md0 md1 md2
    global_store_dwordx4 \base \src \src2 \md0 \md1 \md2
.endm

.macro _global_store_d16_b16 base src src2 md0 md1 md2
    global_store_short \base \src \src2 \md0 \md1 \md2
.endm

.macro _global_store_d16_hi_b16 base src src2 md0 md1 md2
    global_store_short_d16_hi \base \src \src2 \md0 \md1 \md2
.endm

.macro _global_store_d16_u8 base src src2 md0 md1 md2
    global_store_ubyte_d16 \base \src \src2 \md0 \md1 \md2
.endm

.macro _global_store_d16_hi_u8 base src src2 md0 md1 md2
    global_store_ubyte_d16_hi \base \src \src2 \md0 \md1 \md2
.endm

.macro _global_store_u16 base src src2 md0 md1 md2
    global_store_ushort \base \src \src2 \md0 \md1 \md2
.endm

.macro _global_atomic_cmpswap_b32 tmp base data src ioffset md
    global_atomic_cmpswap \tmp \base \data \src \ioffset \md
.endm

.macro _global_atomic_cmpswap_b64 tmp base data src ioffset md
    global_atomic_cmpswap_x2 \tmp \base \data \src \ioffset \md
.endm


/******************************************/
/* Magic div and mod functions            */
/******************************************/
.macro V_MAGIC_DIV dstIdx:req, dividend:req, magicNumber:req, magicShift:req, magicA:req
    v_mul_hi_u32 v[\dstIdx+1], \dividend, \magicNumber
    v_mul_lo_u32 v[\dstIdx+0], \dividend, \magicA
    _v_add_u32 v[\dstIdx+0], v[\dstIdx+0], v[\dstIdx+1]
    v_lshrrev_b32 v[\dstIdx+0], \magicShift, v[\dstIdx+0]
.endm

/******************************************/
/* VGPR Assignments                       */
/******************************************/
/* ValuC range: [0-0), serializedStore enabled */
.set vgprValuC, 0
/* ValuA/B   Xn=PLR buffer idx,  In=InnerUnroll idx */
.set vgprValuA_X0_I0, 0
.set vgprValuA_X1_I0, 18
.set vgprValuA_X2_I0, 36
.set vgprValuA_X3_I0, 54
.set vgprG2LA, 156
.set vgprValuB_X0_I0, 72
.set vgprValuB_X1_I0, 80
.set vgprValuB_X2_I0, 88
.set vgprValuB_X3_I0, 96
.set vgprG2LB, 174
.set vgprLocalWriteAddrA, 104
.set vgprLocalWriteAddrB, 105
.set vgprGlobalReadOffsetA, 106
.set vgprGlobalReadOffsetB, 124
.set vgprLocalReadAddrA, 206
.set vgprLocalReadAddrB, 207
.set vgprSerial, 208
/* Num VGPR=256 */
/* Num AccVGPR=144 */

/******************************************/
/* SGPR Assignments                       */
/******************************************/
.set sgprKernArgAddress, 0 // (2)
.set sgprWorkGroup0, 2 // (1)
.set sgprWorkGroup1, 3 // (1)
.set sgprWorkGroup2, 4 // (1)
.set sgprLoopCounterL, 5 // (1)
.set sgprOrigLoopCounter, 6 // (1)
.set sgprSrdA, 8 // (4)
.set sgprSrdB, 12 // (4)
.set sgprSrdD, 16 // (4)
.set sgprSrdC, 20 // (4)
.set sgprTensor2dSizeA, 24 // (2)
.set sgprTensor2dSizeB, 26 // (2)
.set sgprAddressD, 28 // (2)
.set sgprAddressC, 30 // (2)
.set sgprAddressA, 32 // (2)
.set sgprAddressB, 34 // (2)
.set sgprAlpha, 36 // (1)
.set sgprBeta, 37 // (1)
.set sgprStridesD, 38 // (2)
.set sgprStridesC, 40 // (2)
.set sgprStridesA, 42 // (2)
.set sgprStridesB, 44 // (2)
.set sgprSizesFree, 46 // (3)
.set sgprSizesSum, 49 // (1)
.set sgprOrigStaggerUIter, 50 // (1)
.set sgprNumWorkGroups0, 51 // (1)
.set sgprNumWorkGroups1, 52 // (1)
.set sgprNumFullBlocks, 53 // (1)
.set sgprWgmRemainder1, 54 // (1)
.set sgprMagicNumberWgmRemainder1, 55 // (1)
.set sgprShadowLimitA, 0 // (2)
.set sgprShadowLimitB, 28 // (2)
.set sgprStaggerUIter, 7 // (1)
.set sgprWrapUA, 30 // (2)
.set sgprWrapUB, 32 // (2)
.set sgprGlobalReadIncsA, 34 // (1)
.set sgprGlobalReadIncsB, 35 // (1)
/* max SGPR=63 */

/* Size Assignments */
.set sgprSizeI, sgprSizesFree+0
.set sgprSizeJ, sgprSizesFree+1
.set sgprSizeK, sgprSizesFree+2
.set sgprSizeL, sgprSizesSum+0

/* Stride Assignments */
.set constStrideD0I, 1
.set sgprStrideD1J, sgprStridesD+0
.set sgprStrideDK, sgprStridesD+1
.set constStrideC0I, 1
.set sgprStrideC1J, sgprStridesC+0
.set sgprStrideCK, sgprStridesC+1
.set constStrideAL, 1
.set sgprStrideA0I, sgprStridesA+0
.set sgprStrideAK, sgprStridesA+1
.set constStrideBL, 1
.set sgprStrideB1J, sgprStridesB+0
.set sgprStrideBK, sgprStridesB+1

.set MT0, 144
.set MT1, 256
.set DepthU, 64
.set GSU, 1
.set BpeA, 2
.set BpeALog2, 1
.set BpeB, 2
.set BpeBLog2, 1
/* Number of elements to shift-left SRD */
.set SrdShiftLeftA, 2
.set SrdShiftLeftB, 2
/* 2GB limit - set offsets to -1 to exceed this and clamp */
.set BufferLimitA, 0xffffffff
.set BufferLimitB, 0xffffffff
.set BufferOOB, 0xfffff000

/******************************************/
/* Bits 127:96 of SRD.                    */
/* hex: 0x00020000                        */
/* dst_sel_x (3b): 0                      */
/* dst_sel_y (3b): 0                      */
/* dst_sel_z (3b): 0                      */
/* dst_sel_w (3b): 0                      */
/* num_format (3b): 0                     */
/* data_format (4b): 4                    */
/* user_vm_enable (1b): 0                 */
/* user_vm_mode (1b): 0                   */
/* index_stride (2b): 0                   */
/* add_tid_enable (1b): 0                 */
/* _unusedA (3b): 0                       */
/* nv (1b): 0                             */
/* _unusedB (2b): 0                       */
/* type (2b): 0                           */
/******************************************/
.set Srd127_96, 0x00020000

/* Global Offset A */
.macro GLOBAL_OFFSET_A vgprAddr:req vgprOffsetL:req vgprOffset0I:req vgprTmp:req
v_mul_lo_u32 v[\vgprTmp+0], s[sgprStrideA0I], v[\vgprOffset0I] // mul d1 lower
_v_add_co_u32 v[\vgprAddr+0], vcc, v[\vgprOffsetL], v[\vgprTmp+0] // accumulate K lower
_v_add_u32 v[\vgprAddr+0], 0x2, v[\vgprAddr+0]     // add prepad for pointer shift
v_lshlrev_b32 v[\vgprAddr+0], 0x1, v[\vgprAddr+0]  // offset *= bytes/element
.endm

/* Global Offset B */
.macro GLOBAL_OFFSET_B vgprAddr:req vgprOffsetL:req vgprOffset1J:req vgprTmp:req
v_mul_lo_u32 v[\vgprTmp+0], s[sgprStrideB1J], v[\vgprOffset1J] // mul d1 lower
_v_add_co_u32 v[\vgprAddr+0], vcc, v[\vgprOffsetL], v[\vgprTmp+0] // accumulate K lower
_v_add_u32 v[\vgprAddr+0], 0x2, v[\vgprAddr+0]     // add prepad for pointer shift
v_lshlrev_b32 v[\vgprAddr+0], 0x1, v[\vgprAddr+0]  // offset *= bytes/element
.endm

/******************************************/
/* Dynamic Scalar Divide: vQuotient=vDividend/vDivisor; vRemainder=vDividend%vDivisor; */
/******************************************/
.macro DYNAMIC_VECTOR_DIVIDE vQuotient vRemainder vDividend vDivisor vTmp0 vTmp1 sTmp
v_cvt_f32_u32 v[\vQuotient], v[\vDivisor]          // 
v_rcp_f32 v[\vQuotient], v[\vQuotient]             // 
v_mul_f32 v[\vQuotient], 0x4f800000, v[\vQuotient] // 
v_cvt_u32_f32 v[\vQuotient], v[\vQuotient]         // 
v_mul_lo_u32 v[\vRemainder], v[\vDivisor], v[\vQuotient] // 
v_mul_hi_u32 v[\vTmp0], v[\vDivisor], v[\vQuotient] // 
_v_sub_co_u32 v[\vTmp1], vcc, 0x0, v[\vRemainder]  // 
v_cmp_ne_i32 s[\sTmp:\sTmp+1], 0x0, v[\vTmp0]      // 
v_cndmask_b32 v[\vRemainder], v[\vTmp1], v[\vRemainder], s[\sTmp:\sTmp+1] // 
v_mul_hi_u32 v[\vRemainder], v[\vRemainder], v[\vQuotient] // 
_v_sub_co_u32 v[\vTmp0], vcc, v[\vQuotient], v[\vRemainder] // 
_v_add_co_u32 v[\vQuotient], vcc, v[\vQuotient], v[\vRemainder] // 
v_cndmask_b32 v[\vQuotient], v[\vQuotient], v[\vTmp0], s[\sTmp:\sTmp+1] // 
v_mul_hi_u32 v[\vQuotient], v[\vQuotient], v[\vDividend] // 
v_mul_lo_u32 v[\vRemainder], v[\vQuotient], v[\vDivisor] // 
_v_sub_co_u32 v[\vTmp0], vcc, v[\vDividend], v[\vRemainder] // 
v_cmp_ge_u32 s[\sTmp:\sTmp+1], v[\vDividend], v[\vRemainder] // 
_v_add_co_u32 v[\vRemainder], vcc, 0x1, v[\vQuotient] // 
_v_add_co_u32 v[\vTmp1], vcc, -1, v[\vQuotient]    // 
v_cmp_le_u32 vcc, v[\vDivisor], v[\vTmp0]          // 
s_and_b64 vcc, s[\sTmp:\sTmp+1], vcc               // 
v_cndmask_b32 v[\vQuotient], v[\vQuotient], v[\vRemainder], vcc // 
v_cndmask_b32 v[\vQuotient], v[\vTmp1], v[\vQuotient], s[\sTmp:\sTmp+1] // 
v_cmp_ne_i32 vcc, 0x0, v[\vDivisor]                // 
v_cndmask_b32 v[\vQuotient], -1, v[\vQuotient], vcc // final result
v_mul_lo_u32 v[\vRemainder], v[\vQuotient], v[\vDivisor] // 
_v_sub_co_u32 v[\vRemainder], vcc, v[\vDividend], v[\vRemainder] // final result
.endm


	;; [unrolled: 1-line block ×3, first 2 shown]
/******************************************/
/* Allocate Resources                     */
/******************************************/

Cijk_Alik_Bljk_HHS_BH_MT144x256x64_MI16x16x16x1_SE_1LDSB1_APM1_AF0EM8_AF1EM1_AMAS0_ASE_ASAE01_ASCE01_ASEM1_BL1_DTLA0_DTLB0_DVO0_EPS1_FL0_GLVWA2_GLVWB2_GRVW2_GSU1_GSUASB_ISA908_IU1_K1_KLA_LBSPPA128_LBSPPB128_LPA16_LPB16_LDL1_LRVW8_LDW0_MAC_MDA2_MMFGLC_NTC0_NTD0_NEPBS0_NLCA1_NLCB1_ONLL1_OPLV0_PK0_PAP0_PGR1_PLR5_SIA3_SS0_SU32_SUM0_SUS128_SPO0_SRVW0_SSO0_SVW4_SNLL0_TT9_64_TLDS1_UMLDSA1_UMLDSB1_USFGROn1_VAW2_VSn1_VW1_VWB2_WSGRA1_WSGRB1_WG16_16_1_WGM15_preloaded: // Kernel start when preloading

/* Load Kernel Args */
_s_load_b512 s[24:39], s[sgprKernArgAddress:sgprKernArgAddress+1], 0x0 // 
_s_load_b512 s[40:55], s[sgprKernArgAddress:sgprKernArgAddress+1], 0x40 // 
s_mov_b32 m0, 0xfa00                               // LDS clamp at 64000 bytes
v_mov_b32 v[vgprSerial], v0                        // thread serial id

/******************************************/
/* Local Read Addresses                   */
/******************************************/


/* local read addresses: tile assignments a/b */

/*lr0I*/
v_and_b32 v1, 63, v[vgprSerial]                    // 0. thread id in wave: wtid = tid % wavelength(64)
v_and_b32 v0, 15, v1                               // 1. N offset: nIdx = wtid % MI_N(16)
v_lshlrev_b32 v0, 0x6, v0                          // 1. N offset: nOffset = nIdx * nStride(64)
                                                   // 2. block offset: bnIdx = bnIdx % num1DBlocks(1) is 0. do nothing
                                                   // 4. apply VectorWidth: bnOffset = bnOffset * vw(1) (multiplier is 1, do nothing)
v_lshrrev_b32 v1, 4, v1                            // 5. K offset: kIdx = wtid / (MIN(16) * MIBB(1))
v_lshlrev_b32 v1, 0x3, v1                          // 5. K offset: lrKOffset = kIdx * mStride(8)
_v_add_u32 v0, v1, v0                              // 6. offset in wave: lrOffset = bnOffset + lrKOffset
/*lr1J*/
v_and_b32 v2, 63, v[vgprSerial]                    // 0. thread id in wave: wtid = tid % wavelength(64)
v_and_b32 v1, 15, v2                               // 1. N offset: nIdx = wtid % MI_N(16)
v_lshlrev_b32 v1, 0x6, v1                          // 1. N offset: nOffset = nIdx * nStride(64)
                                                   // 2. block offset: bnIdx = bnIdx % num1DBlocks(1) is 0. do nothing
v_lshlrev_b32 v1, 0x1, v1                          // 4. apply VectorWidth: bnOffset = bnOffset * vw(2)
v_lshrrev_b32 v2, 4, v2                            // 5. K offset: kIdx = wtid / (MIN(16) * MIBB(1))
v_lshlrev_b32 v2, 0x3, v2                          // 5. K offset: lrKOffset = kIdx * mStride(8)
_v_add_u32 v1, v2, v1                              // 6. offset in wave: lrOffset = bnOffset + lrKOffset
v_lshrrev_b32 v3, 6, v[vgprSerial]                 // 7. wave offset in N dimen: wtid = tid / dividedForWaveId(64)
v_and_b32 v2, 3, v3                                // 7. wave offset in M dimen: wtid0 = wtid / num1DWaves(4)
v_lshlrev_b32 v2, 0xb, v2                          // 7. wave offset in M dimen: wOffset = wtid0 * W0Stride(2048)
_v_add_u32 v1, v2, v1                              // 8. final local read offset: flrOffset = lrOffset + WOffset


/* local read addresses: final offsets a */

v_lshlrev_b32 v[vgprLocalReadAddrA], 0x1, v0       // Final Offset: offset = (lro0)*bpe
v_lshrrev_b32 v0, 7, v[vgprLocalReadAddrA]         // Final Offset: padding 16 per block 128
v_lshlrev_b32 v0, 0x5, v0                          // Final Offset: padding 16 per block 128
_v_add_u32 v[vgprLocalReadAddrA], v0, v[vgprLocalReadAddrA] // Final Offset: add padding 16 per block 128


/* local read addresses: final offsets b */

v_lshlrev_b32 v[vgprLocalReadAddrB], 0x1, v1       // Final Offset: offset = (lro1)*bpe
v_lshrrev_b32 v0, 7, v[vgprLocalReadAddrB]         // Final Offset: padding 16 per block 128
v_lshlrev_b32 v0, 0x5, v0                          // Final Offset: padding 16 per block 128
_v_add_u32 v[vgprLocalReadAddrB], v0, v[vgprLocalReadAddrB] // Final Offset: add padding 16 per block 128


/* local read addresses: declare addresses a */

/* N/A */


/* local read addresses: declare addresses b */

_v_add_co_u32 v[vgprLocalReadAddrB+0], vcc, 0x5a00, v[vgprLocalReadAddrB+0] //  += LdsOffsetB (lower)


/* global read addresses: tile offset assignment a */

/* LVCA = 32 */
/* v0 = (local)groA-tile = serial/LVCA (note (wgA*MTA) will be added to SRD) */
/* v1 = groA-unroll = serial%LVCA */
v_and_b32 v2, 63, v[vgprSerial]                    // v2 = v[vgprSerial] % 64
v_lshrrev_b32 v0, 5, v2                            // v0 = v2 / 32
v_and_b32 v1, 31, v2                               // v1 = v2 % 32
v_readfirstlane_b32 s56, v[vgprSerial]             // WaveIdxWavefrontWidth
s_lshr_b32 s56, s56, 0x6                           // WaveId
s_mul_i32 s56, s56, 36                             // Global Read Wave: each wave loads continuous lsp(2)*nrp(18) columns
_v_add_u32 v0, s56, v0                             // Global Read Wave: add back to column index
/* gro-unroll *= glvw */
v_lshlrev_b32 v1, 0x1, v1                          // v1 = v1 * 2


/* global read addresses: tile offset assignment b */

/* LVCB = 32 */
/* v2 = (local)groB-tile = serial/LVCB (note (wgB*MTB) will be added to SRD) */
/* v3 = groB-unroll = serial%LVCB */
v_and_b32 v4, 63, v[vgprSerial]                    // v4 = v[vgprSerial] % 64
v_lshrrev_b32 v2, 5, v4                            // v2 = v4 / 32
v_and_b32 v3, 31, v4                               // v3 = v4 % 32
v_readfirstlane_b32 s56, v[vgprSerial]             // WaveIdxWavefrontWidth
s_lshr_b32 s56, s56, 0x6                           // WaveId
s_mul_i32 s56, s56, 64                             // Global Read Wave: each wave loads continuous lsp(2)*nrp(32) columns
_v_add_u32 v2, s56, v2                             // Global Read Wave: add back to column index
/* gro-unroll *= glvw */
v_lshlrev_b32 v3, 0x1, v3                          // v3 = v3 * 2


/******************************************/
/* Local Write Addresses                  */
/******************************************/

/* lwaTileAssignmentA = v0 */

/* lwaTileAssignmentB = v2 */

/* lwaUnrollAssignmentA = v1 */

/* lwaUnrollAssignmentB = v3 */


/* local write addresses: first offset a */

v_mul_u32_u24 v[vgprLocalWriteAddrA], 0x40, v0     // lwAL**(DepthU_Compute + PAD)
_v_add_lshl_u32 v[vgprLocalWriteAddrA], v1, v[vgprLocalWriteAddrA], 0x1 // lwFOA = (lwAA + lwAL*(DepthU+PAD))*bpe
v_lshrrev_b32 v4, 7, v[vgprLocalWriteAddrA]        // padding 16 per block 128
v_lshlrev_b32 v4, 0x5, v4                          // padding 16 per block 128
_v_add_u32 v[vgprLocalWriteAddrA], v4, v[vgprLocalWriteAddrA] // add padding 16 per block 128


/* local write addresses: first offset b */

v_mul_u32_u24 v[vgprLocalWriteAddrB], 0x40, v2     // lwBL**(DepthU_Compute + PAD)
_v_add_lshl_u32 v[vgprLocalWriteAddrB], v3, v[vgprLocalWriteAddrB], 0x1 // lwFOB = (lwBB + lwBL*(DepthU+PAD))*bpe
v_lshrrev_b32 v4, 7, v[vgprLocalWriteAddrB]        // padding 16 per block 128
v_lshlrev_b32 v4, 0x5, v4                          // padding 16 per block 128
_v_add_u32 v[vgprLocalWriteAddrB], v4, v[vgprLocalWriteAddrB] // add padding 16 per block 128
_v_add_co_u32 v[vgprLocalWriteAddrB], vcc, 0x5a00, v[vgprLocalWriteAddrB] // lwFOB = lwB1J + lwBL*MT1J + LDS_OFFSET_B=11520*2


	;; [unrolled: 1-line block ×7, first 2 shown]
s_waitcnt lgkmcnt(0)                               // wait for 128 bytes of kern args
s_mov_b64 s[sgprSrdC+0:sgprSrdC+0+1], s[sgprAddressC+0:sgprAddressC+0+1] // copy addressC
s_mov_b64 s[sgprSrdD+0:sgprSrdD+0+1], s[sgprAddressD+0:sgprAddressD+0+1] // copy addressD
s_sub_u32 s[sgprSrdA+0], s[sgprAddressA+0], 4      // pre-pad to make room for possible pointer shift
s_subb_u32 s[sgprSrdA+1], s[sgprAddressA+1], 0     // pre-pad to make room for possible pointer shift
s_sub_u32 s[sgprSrdB+0], s[sgprAddressB+0], 4      // pre-pad to make room for possible pointer shift
s_subb_u32 s[sgprSrdB+1], s[sgprAddressB+1], 0     // pre-pad to make room for possible pointer shift

.set AddressD, UNDEF
.set AddressC, UNDEF
.set AddressA, UNDEF
.set AddressB, UNDEF

/* Short circuit condition if Alpha == 0, then sumDims=0 */
v_cmp_eq_f32 vcc, s[sgprAlpha], 0.0                // Alpha == 0.0f ?
s_cbranch_vccz label_AlphaNonZero                  // branch if alpha != 0
s_mov_b32 s[sgprSizesSum+0], 0x0                   // Set summation dim=0 if Alpha == 0
label_AlphaNonZero:


	;; [unrolled: 1-line block ×3, first 2 shown]
/******************************************/
/* Begin setupNewTile, isPap=False           */
/******************************************/


/* global read addresses: work-group */

/* graWorkGroup mapping */
s_mov_b32 s61, 0x8888889L                          // magic number for WGM==15
s_mul_hi_u32 s59, s[sgprWorkGroup1], s61           // s_magic mul
s_mul_i32 s58, s[sgprWorkGroup1], s61              // s_magic mul
s_lshr_b64 s[58:59], s[58:59], 31                  // sMagicDiv
s_mul_i32 s59, s58, 15                             // quotient * non-magic divisor
s_sub_u32 s59, s[sgprWorkGroup1], s59              // WorkGroup1=remainder
s_mul_i32 s59, s59, s[sgprNumWorkGroups0]          // (wg1 % WGM)*nwg0
s_add_u32 s59, s59, s[sgprWorkGroup0]              // wgSerial = wg0 + (wg1 % WGM)*nwg1
s_cmp_ge_u32 s58, s[sgprNumFullBlocks]             // blockId >= numFullBlocks ?
s_cmov_b32 s61, s[sgprMagicNumberWgmRemainder1]    // 
s_cselect_b32 s60, s[sgprWgmRemainder1], 15        // 
s_mul_hi_u32 s3, s59, s61                          // s_magic mul
s_mul_i32 s2, s59, s61                             // s_magic mul
s_lshr_b64 s[2:3], s[2:3], 31                      // sMagicDiv
s_mul_i32 s[sgprWorkGroup1], s[sgprWorkGroup0], s60 // quotient * non-magic divisor
s_sub_u32 s[sgprWorkGroup1], s59, s[sgprWorkGroup1] // WorkGroup1=remainder
s_mul_i32 s58, s58, 15                             // blockId * WGM
s_add_u32 s[sgprWorkGroup1], s[sgprWorkGroup1], s58 // wg1 += blockId * WGM


/* global read addresses: unroll assignment a */

/* v1 */


/* global read addresses: unroll assignment b */

/* v3 */


/* global read addresses: other free assignments */

/* s[sgprWorkGroup2] */


/* global read addresses: tile offsets a */

v_mov_b32 v4, v0                                   // groA0I_0
_v_add_co_u32 v5, vcc, 2, v4                       // groA0I_1 += LSPA
_v_add_co_u32 v6, vcc, 2, v5                       // groA0I_2 += LSPA
_v_add_co_u32 v7, vcc, 2, v6                       // groA0I_3 += LSPA
_v_add_co_u32 v8, vcc, 2, v7                       // groA0I_4 += LSPA
_v_add_co_u32 v9, vcc, 2, v8                       // groA0I_5 += LSPA
_v_add_co_u32 v10, vcc, 2, v9                      // groA0I_6 += LSPA
_v_add_co_u32 v11, vcc, 2, v10                     // groA0I_7 += LSPA
_v_add_co_u32 v12, vcc, 2, v11                     // groA0I_8 += LSPA
_v_add_co_u32 v13, vcc, 2, v12                     // groA0I_9 += LSPA
_v_add_co_u32 v14, vcc, 2, v13                     // groA0I_10 += LSPA
_v_add_co_u32 v15, vcc, 2, v14                     // groA0I_11 += LSPA
_v_add_co_u32 v16, vcc, 2, v15                     // groA0I_12 += LSPA
_v_add_co_u32 v17, vcc, 2, v16                     // groA0I_13 += LSPA
_v_add_co_u32 v18, vcc, 2, v17                     // groA0I_14 += LSPA
_v_add_co_u32 v19, vcc, 2, v18                     // groA0I_15 += LSPA
_v_add_co_u32 v20, vcc, 2, v19                     // groA0I_16 += LSPA
_v_add_co_u32 v21, vcc, 2, v20                     // groA0I_17 += LSPA


/* global read addresses: tile offsets b */

v_mov_b32 v22, v2                                  // groB1J_0
_v_add_co_u32 v23, vcc, 2, v22                     // groB1J_1 += LSPB
_v_add_co_u32 v24, vcc, 2, v23                     // groB1J_2 += LSPB
_v_add_co_u32 v25, vcc, 2, v24                     // groB1J_3 += LSPB
_v_add_co_u32 v26, vcc, 2, v25                     // groB1J_4 += LSPB
_v_add_co_u32 v27, vcc, 2, v26                     // groB1J_5 += LSPB
_v_add_co_u32 v28, vcc, 2, v27                     // groB1J_6 += LSPB
_v_add_co_u32 v29, vcc, 2, v28                     // groB1J_7 += LSPB
_v_add_co_u32 v30, vcc, 2, v29                     // groB1J_8 += LSPB
_v_add_co_u32 v31, vcc, 2, v30                     // groB1J_9 += LSPB
_v_add_co_u32 v32, vcc, 2, v31                     // groB1J_10 += LSPB
_v_add_co_u32 v33, vcc, 2, v32                     // groB1J_11 += LSPB
_v_add_co_u32 v34, vcc, 2, v33                     // groB1J_12 += LSPB
_v_add_co_u32 v35, vcc, 2, v34                     // groB1J_13 += LSPB
_v_add_co_u32 v36, vcc, 2, v35                     // groB1J_14 += LSPB
_v_add_co_u32 v37, vcc, 2, v36                     // groB1J_15 += LSPB
_v_add_co_u32 v38, vcc, 2, v37                     // groB1J_16 += LSPB
_v_add_co_u32 v39, vcc, 2, v38                     // groB1J_17 += LSPB
_v_add_co_u32 v40, vcc, 2, v39                     // groB1J_18 += LSPB
_v_add_co_u32 v41, vcc, 2, v40                     // groB1J_19 += LSPB
_v_add_co_u32 v42, vcc, 2, v41                     // groB1J_20 += LSPB
_v_add_co_u32 v43, vcc, 2, v42                     // groB1J_21 += LSPB
_v_add_co_u32 v44, vcc, 2, v43                     // groB1J_22 += LSPB
_v_add_co_u32 v45, vcc, 2, v44                     // groB1J_23 += LSPB
_v_add_co_u32 v46, vcc, 2, v45                     // groB1J_24 += LSPB
_v_add_co_u32 v47, vcc, 2, v46                     // groB1J_25 += LSPB
_v_add_co_u32 v48, vcc, 2, v47                     // groB1J_26 += LSPB
_v_add_co_u32 v49, vcc, 2, v48                     // groB1J_27 += LSPB
_v_add_co_u32 v50, vcc, 2, v49                     // groB1J_28 += LSPB
_v_add_co_u32 v51, vcc, 2, v50                     // groB1J_29 += LSPB
_v_add_co_u32 v52, vcc, 2, v51                     // groB1J_30 += LSPB
_v_add_co_u32 v53, vcc, 2, v52                     // groB1J_31 += LSPB


/* global read addresses: unroll offsets a */

v_mov_b32 v54, v1                                  // groAL_0


/* global read addresses: unroll offsets b */

v_mov_b32 v55, v3                                  // groBL_0


/* global read addresses: final offsets a */

GLOBAL_OFFSET_A vgprGlobalReadOffsetA+0, 54,  4, 56 // gROA_0_0_0_0
GLOBAL_OFFSET_A vgprGlobalReadOffsetA+1, 54,  5, 56 // gROA_0_0_1_0
GLOBAL_OFFSET_A vgprGlobalReadOffsetA+2, 54,  6, 56 // gROA_0_0_2_0
GLOBAL_OFFSET_A vgprGlobalReadOffsetA+3, 54,  7, 56 // gROA_0_0_3_0
GLOBAL_OFFSET_A vgprGlobalReadOffsetA+4, 54,  8, 56 // gROA_0_0_4_0
GLOBAL_OFFSET_A vgprGlobalReadOffsetA+5, 54,  9, 56 // gROA_0_0_5_0
GLOBAL_OFFSET_A vgprGlobalReadOffsetA+6, 54, 10, 56 // gROA_0_0_6_0
GLOBAL_OFFSET_A vgprGlobalReadOffsetA+7, 54, 11, 56 // gROA_0_0_7_0
GLOBAL_OFFSET_A vgprGlobalReadOffsetA+8, 54, 12, 56 // gROA_0_0_8_0
GLOBAL_OFFSET_A vgprGlobalReadOffsetA+9, 54, 13, 56 // gROA_0_0_9_0
GLOBAL_OFFSET_A vgprGlobalReadOffsetA+10, 54, 14, 56 // gROA_0_0_10_0
GLOBAL_OFFSET_A vgprGlobalReadOffsetA+11, 54, 15, 56 // gROA_0_0_11_0
GLOBAL_OFFSET_A vgprGlobalReadOffsetA+12, 54, 16, 56 // gROA_0_0_12_0
GLOBAL_OFFSET_A vgprGlobalReadOffsetA+13, 54, 17, 56 // gROA_0_0_13_0
GLOBAL_OFFSET_A vgprGlobalReadOffsetA+14, 54, 18, 56 // gROA_0_0_14_0
GLOBAL_OFFSET_A vgprGlobalReadOffsetA+15, 54, 19, 56 // gROA_0_0_15_0
GLOBAL_OFFSET_A vgprGlobalReadOffsetA+16, 54, 20, 56 // gROA_0_0_16_0
GLOBAL_OFFSET_A vgprGlobalReadOffsetA+17, 54, 21, 56 // gROA_0_0_17_0


/* global read addresses: final offsets b */

GLOBAL_OFFSET_B vgprGlobalReadOffsetB+0, 55, 22, 4 // gROB_0_0_0_0
GLOBAL_OFFSET_B vgprGlobalReadOffsetB+1, 55, 23, 4 // gROB_0_0_1_0
GLOBAL_OFFSET_B vgprGlobalReadOffsetB+2, 55, 24, 4 // gROB_0_0_2_0
GLOBAL_OFFSET_B vgprGlobalReadOffsetB+3, 55, 25, 4 // gROB_0_0_3_0
GLOBAL_OFFSET_B vgprGlobalReadOffsetB+4, 55, 26, 4 // gROB_0_0_4_0
GLOBAL_OFFSET_B vgprGlobalReadOffsetB+5, 55, 27, 4 // gROB_0_0_5_0
GLOBAL_OFFSET_B vgprGlobalReadOffsetB+6, 55, 28, 4 // gROB_0_0_6_0
GLOBAL_OFFSET_B vgprGlobalReadOffsetB+7, 55, 29, 4 // gROB_0_0_7_0
GLOBAL_OFFSET_B vgprGlobalReadOffsetB+8, 55, 30, 4 // gROB_0_0_8_0
GLOBAL_OFFSET_B vgprGlobalReadOffsetB+9, 55, 31, 4 // gROB_0_0_9_0
GLOBAL_OFFSET_B vgprGlobalReadOffsetB+10, 55, 32, 4 // gROB_0_0_10_0
GLOBAL_OFFSET_B vgprGlobalReadOffsetB+11, 55, 33, 4 // gROB_0_0_11_0
GLOBAL_OFFSET_B vgprGlobalReadOffsetB+12, 55, 34, 4 // gROB_0_0_12_0
GLOBAL_OFFSET_B vgprGlobalReadOffsetB+13, 55, 35, 4 // gROB_0_0_13_0
GLOBAL_OFFSET_B vgprGlobalReadOffsetB+14, 55, 36, 4 // gROB_0_0_14_0
GLOBAL_OFFSET_B vgprGlobalReadOffsetB+15, 55, 37, 4 // gROB_0_0_15_0
GLOBAL_OFFSET_B vgprGlobalReadOffsetB+16, 55, 38, 4 // gROB_0_0_16_0
GLOBAL_OFFSET_B vgprGlobalReadOffsetB+17, 55, 39, 4 // gROB_0_0_17_0
GLOBAL_OFFSET_B vgprGlobalReadOffsetB+18, 55, 40, 4 // gROB_0_0_18_0
GLOBAL_OFFSET_B vgprGlobalReadOffsetB+19, 55, 41, 4 // gROB_0_0_19_0
GLOBAL_OFFSET_B vgprGlobalReadOffsetB+20, 55, 42, 4 // gROB_0_0_20_0
GLOBAL_OFFSET_B vgprGlobalReadOffsetB+21, 55, 43, 4 // gROB_0_0_21_0
GLOBAL_OFFSET_B vgprGlobalReadOffsetB+22, 55, 44, 4 // gROB_0_0_22_0
GLOBAL_OFFSET_B vgprGlobalReadOffsetB+23, 55, 45, 4 // gROB_0_0_23_0
GLOBAL_OFFSET_B vgprGlobalReadOffsetB+24, 55, 46, 4 // gROB_0_0_24_0
GLOBAL_OFFSET_B vgprGlobalReadOffsetB+25, 55, 47, 4 // gROB_0_0_25_0
GLOBAL_OFFSET_B vgprGlobalReadOffsetB+26, 55, 48, 4 // gROB_0_0_26_0
GLOBAL_OFFSET_B vgprGlobalReadOffsetB+27, 55, 49, 4 // gROB_0_0_27_0
GLOBAL_OFFSET_B vgprGlobalReadOffsetB+28, 55, 50, 4 // gROB_0_0_28_0
GLOBAL_OFFSET_B vgprGlobalReadOffsetB+29, 55, 51, 4 // gROB_0_0_29_0
GLOBAL_OFFSET_B vgprGlobalReadOffsetB+30, 55, 52, 4 // gROB_0_0_30_0
GLOBAL_OFFSET_B vgprGlobalReadOffsetB+31, 55, 53, 4 // gROB_0_0_31_0


/* global read addresses: addresses a */

/* max read offset = size[n] * stride[n-1] */
s_mul_hi_u32 s61, s[sgprWorkGroup0], 144           // WorkGroup[01] * MT
s_mul_i32 s60, s[sgprWorkGroup0], 144              // WorkGroup[01] * MT
s_mul_hi_u32 s61, s60, s[sgprStrideA0I]            // tlu=0, scaled tile-offset by stride
s_mul_i32 s60, s60, s[sgprStrideA0I]               // tlu=0, scaled tile-offset by stride
s_sub_u32 s[sgprShadowLimitA+0], s[sgprTensor2dSizeA], s60 // sub tileStart
s_subb_u32 s[sgprShadowLimitA+1], s[sgprTensor2dSizeA+1], s61 // sub tileStart
s_lshl_b64 s[sgprShadowLimitA:sgprShadowLimitA+1], s[sgprShadowLimitA:sgprShadowLimitA+1], 0x1 // Set limit to use bytes
s_add_u32 s[sgprShadowLimitA+0], s[sgprShadowLimitA+0], 4 // extend limit for pre-pad
s_addc_u32 s[sgprShadowLimitA+1], s[sgprShadowLimitA+1], 0 // extend limit for pre-pad
s_cmp_eq_u32 s[sgprShadowLimitA+1], 0              // are we within 2^32?
s_cselect_b32 s[sgprSrdA+2], s[sgprShadowLimitA+0], BufferLimitA // Move shadow to real if we are within 2^32
s_mul_hi_u32 s59, s[sgprStrideAK], s[sgprWorkGroup2] // Stride*WG
s_mul_i32 s58, s[sgprStrideAK], s[sgprWorkGroup2]  // Stride*WG
s_add_u32 s60, s60, s58                            // accum wg term to tilestart
s_addc_u32 s61, s61, s59                           // accum wg term to tilestart
s_lshl_b64 s[60:61], s[60:61], 0x1                 // tileStart *= BPE
s_add_u32 s[sgprSrdA+0], s[sgprSrdA+0], s60        // SRD base = Address+ tileStart0
s_addc_u32 s[sgprSrdA+1], s[sgprSrdA+1], s61       // SRD base = Address+ tileStart1
s_mov_b32 s[sgprSrdA+3], Srd127_96                 // Set bits 127_96 in SRD


/* global read addresses: addresses b */

/* max read offset = size[n] * stride[n-1] */
s_mul_hi_u32 s61, s[sgprWorkGroup1], 256           // WorkGroup[01] * MT
s_mul_i32 s60, s[sgprWorkGroup1], 256              // WorkGroup[01] * MT
s_mul_hi_u32 s61, s60, s[sgprStrideB1J]            // tlu=0, scaled tile-offset by stride
s_mul_i32 s60, s60, s[sgprStrideB1J]               // tlu=0, scaled tile-offset by stride
s_sub_u32 s[sgprShadowLimitB+0], s[sgprTensor2dSizeB], s60 // sub tileStart
s_subb_u32 s[sgprShadowLimitB+1], s[sgprTensor2dSizeB+1], s61 // sub tileStart
s_lshl_b64 s[sgprShadowLimitB:sgprShadowLimitB+1], s[sgprShadowLimitB:sgprShadowLimitB+1], 0x1 // Set limit to use bytes
s_add_u32 s[sgprShadowLimitB+0], s[sgprShadowLimitB+0], 4 // extend limit for pre-pad
s_addc_u32 s[sgprShadowLimitB+1], s[sgprShadowLimitB+1], 0 // extend limit for pre-pad
s_cmp_eq_u32 s[sgprShadowLimitB+1], 0              // are we within 2^32?
s_cselect_b32 s[sgprSrdB+2], s[sgprShadowLimitB+0], BufferLimitB // Move shadow to real if we are within 2^32
s_mul_hi_u32 s59, s[sgprStrideBK], s[sgprWorkGroup2] // Stride*WG
s_mul_i32 s58, s[sgprStrideBK], s[sgprWorkGroup2]  // Stride*WG
s_add_u32 s60, s60, s58                            // accum wg term to tilestart
s_addc_u32 s61, s61, s59                           // accum wg term to tilestart
s_lshl_b64 s[60:61], s[60:61], 0x1                 // tileStart *= BPE
s_add_u32 s[sgprSrdB+0], s[sgprSrdB+0], s60        // SRD base = Address+ tileStart0
s_addc_u32 s[sgprSrdB+1], s[sgprSrdB+1], s61       // SRD base = Address+ tileStart1
s_mov_b32 s[sgprSrdB+3], Srd127_96                 // Set bits 127_96 in SRD


/* global read addresses: increments a */

s_mov_b32 s[sgprGlobalReadIncsA+0], DepthU*BpeA    // incrA (unrollIdx)


/* global read addresses: increments b */

s_mov_b32 s[sgprGlobalReadIncsB+0], DepthU*BpeB    // incrB (unrollIdx)

/* declare loop num iterations */


s_lshr_b32 s[sgprLoopCounterL], s[sgprSizesSum+0], 6 // s[sgprLoopCounterL] = s[sgprSizesSum+0] / 64
s_mov_b32 s[sgprOrigLoopCounter], s[sgprLoopCounterL] // copy loop counter

s_and_b32 s[sgprStaggerUIter], s[sgprOrigStaggerUIter], s[sgprWorkGroup0] // Compute actual stagger start for this tile


/* SRDs += (StaggerUIter) * GlobalReadIncsA+0 */
s_mul_hi_u32 s59, s[sgprStaggerUIter], s[sgprGlobalReadIncsA+0] //  stagger byte offset
s_mul_i32 s58, s[sgprStaggerUIter], s[sgprGlobalReadIncsA+0] //  stagger byte offset
s_mul_hi_u32 s[sgprWrapUA+1], s[sgprLoopCounterL], s[sgprGlobalReadIncsA+0] // Number of bytes accessed by the unroll loop
s_mul_i32 s[sgprWrapUA+0], s[sgprLoopCounterL], s[sgprGlobalReadIncsA+0] // Number of bytes accessed by the unroll loop
s_sub_u32 s[sgprWrapUA+0], s[sgprGlobalReadIncsA+0], s[sgprWrapUA+0] // remove one iteration
s_subb_u32 s[sgprWrapUA+1], 0, s[sgprWrapUA+1]     // remove one iteration
s_add_u32 s[sgprSrdA+0], s[sgprSrdA+0], s58        // gra SRD += inc(lower)
s_addc_u32  s[sgprSrdA+1], s[sgprSrdA+1], s59      // gra SRD += inc(upper)
s_sub_u32 s[sgprShadowLimitA+0], s[sgprShadowLimitA+0], s58 // limit -= inc)
s_subb_u32 s[sgprShadowLimitA+1], s[sgprShadowLimitA+1], s59 // limit -= inc)
s_cmp_eq_u32 s[sgprShadowLimitA+1], 0              // are we within 2^32?
s_cselect_b32 s[sgprSrdA+2], s[sgprShadowLimitA+0], BufferLimitA // Move shadow to real if we are within 2^32


/* SRDs += (StaggerUIter) * GlobalReadIncsB+0 */
s_mul_hi_u32 s59, s[sgprStaggerUIter], s[sgprGlobalReadIncsB+0] //  stagger byte offset
s_mul_i32 s58, s[sgprStaggerUIter], s[sgprGlobalReadIncsB+0] //  stagger byte offset
s_mul_hi_u32 s[sgprWrapUB+1], s[sgprLoopCounterL], s[sgprGlobalReadIncsB+0] // Number of bytes accessed by the unroll loop
s_mul_i32 s[sgprWrapUB+0], s[sgprLoopCounterL], s[sgprGlobalReadIncsB+0] // Number of bytes accessed by the unroll loop
s_sub_u32 s[sgprWrapUB+0], s[sgprGlobalReadIncsB+0], s[sgprWrapUB+0] // remove one iteration
s_subb_u32 s[sgprWrapUB+1], 0, s[sgprWrapUB+1]     // remove one iteration
s_add_u32 s[sgprSrdB+0], s[sgprSrdB+0], s58        // gra SRD += inc(lower)
s_addc_u32  s[sgprSrdB+1], s[sgprSrdB+1], s59      // gra SRD += inc(upper)
s_sub_u32 s[sgprShadowLimitB+0], s[sgprShadowLimitB+0], s58 // limit -= inc)
s_subb_u32 s[sgprShadowLimitB+1], s[sgprShadowLimitB+1], s59 // limit -= inc)
s_cmp_eq_u32 s[sgprShadowLimitB+1], 0              // are we within 2^32?
s_cselect_b32 s[sgprSrdB+2], s[sgprShadowLimitB+0], BufferLimitB // Move shadow to real if we are within 2^32
s_add_u32 s[sgprStaggerUIter], s[sgprStaggerUIter], 2 // Subtract (PGR-1); StaggerUIter now contains target iteration to wrap

/* local read addresses: init pointers a */


/* localReadInitPointers */

/* local read addresses: init pointers b */


/* localReadInitPointers */


/* prefetch: global -> local */

s_cmp_eq_u32 s[sgprLoopCounterL], 0                // at last iteration?
s_cbranch_scc1 ShadowInitStart_10                  // skip to ShadowInitStart iter b/c numIter==0


_buffer_load_b32 v[vgprG2LA+0], v[vgprGlobalReadOffsetA+0], s[sgprSrdA:sgprSrdA+3], 0, offen offset:0 // G -> Reg 0_0_0_0
_buffer_load_b32 v[vgprG2LA+1], v[vgprGlobalReadOffsetA+1], s[sgprSrdA:sgprSrdA+3], 0, offen offset:0 // G -> Reg 0_0_1_0
_buffer_load_b32 v[vgprG2LA+2], v[vgprGlobalReadOffsetA+2], s[sgprSrdA:sgprSrdA+3], 0, offen offset:0 // G -> Reg 0_0_2_0
_buffer_load_b32 v[vgprG2LA+3], v[vgprGlobalReadOffsetA+3], s[sgprSrdA:sgprSrdA+3], 0, offen offset:0 // G -> Reg 0_0_3_0
_buffer_load_b32 v[vgprG2LA+4], v[vgprGlobalReadOffsetA+4], s[sgprSrdA:sgprSrdA+3], 0, offen offset:0 // G -> Reg 0_0_4_0
_buffer_load_b32 v[vgprG2LA+5], v[vgprGlobalReadOffsetA+5], s[sgprSrdA:sgprSrdA+3], 0, offen offset:0 // G -> Reg 0_0_5_0
_buffer_load_b32 v[vgprG2LA+6], v[vgprGlobalReadOffsetA+6], s[sgprSrdA:sgprSrdA+3], 0, offen offset:0 // G -> Reg 0_0_6_0
_buffer_load_b32 v[vgprG2LA+7], v[vgprGlobalReadOffsetA+7], s[sgprSrdA:sgprSrdA+3], 0, offen offset:0 // G -> Reg 0_0_7_0
_buffer_load_b32 v[vgprG2LA+8], v[vgprGlobalReadOffsetA+8], s[sgprSrdA:sgprSrdA+3], 0, offen offset:0 // G -> Reg 0_0_8_0
_buffer_load_b32 v[vgprG2LA+9], v[vgprGlobalReadOffsetA+9], s[sgprSrdA:sgprSrdA+3], 0, offen offset:0 // G -> Reg 0_0_9_0
_buffer_load_b32 v[vgprG2LA+10], v[vgprGlobalReadOffsetA+10], s[sgprSrdA:sgprSrdA+3], 0, offen offset:0 // G -> Reg 0_0_10_0
_buffer_load_b32 v[vgprG2LA+11], v[vgprGlobalReadOffsetA+11], s[sgprSrdA:sgprSrdA+3], 0, offen offset:0 // G -> Reg 0_0_11_0
_buffer_load_b32 v[vgprG2LA+12], v[vgprGlobalReadOffsetA+12], s[sgprSrdA:sgprSrdA+3], 0, offen offset:0 // G -> Reg 0_0_12_0
_buffer_load_b32 v[vgprG2LA+13], v[vgprGlobalReadOffsetA+13], s[sgprSrdA:sgprSrdA+3], 0, offen offset:0 // G -> Reg 0_0_13_0
_buffer_load_b32 v[vgprG2LA+14], v[vgprGlobalReadOffsetA+14], s[sgprSrdA:sgprSrdA+3], 0, offen offset:0 // G -> Reg 0_0_14_0
_buffer_load_b32 v[vgprG2LA+15], v[vgprGlobalReadOffsetA+15], s[sgprSrdA:sgprSrdA+3], 0, offen offset:0 // G -> Reg 0_0_15_0
_buffer_load_b32 v[vgprG2LA+16], v[vgprGlobalReadOffsetA+16], s[sgprSrdA:sgprSrdA+3], 0, offen offset:0 // G -> Reg 0_0_16_0
_buffer_load_b32 v[vgprG2LA+17], v[vgprGlobalReadOffsetA+17], s[sgprSrdA:sgprSrdA+3], 0, offen offset:0 // G -> Reg 0_0_17_0


_buffer_load_b32 v[vgprG2LB+0], v[vgprGlobalReadOffsetB+0], s[sgprSrdB:sgprSrdB+3], 0, offen offset:0 // G -> Reg 0_0_0_0
_buffer_load_b32 v[vgprG2LB+1], v[vgprGlobalReadOffsetB+1], s[sgprSrdB:sgprSrdB+3], 0, offen offset:0 // G -> Reg 0_0_1_0
_buffer_load_b32 v[vgprG2LB+2], v[vgprGlobalReadOffsetB+2], s[sgprSrdB:sgprSrdB+3], 0, offen offset:0 // G -> Reg 0_0_2_0
_buffer_load_b32 v[vgprG2LB+3], v[vgprGlobalReadOffsetB+3], s[sgprSrdB:sgprSrdB+3], 0, offen offset:0 // G -> Reg 0_0_3_0
_buffer_load_b32 v[vgprG2LB+4], v[vgprGlobalReadOffsetB+4], s[sgprSrdB:sgprSrdB+3], 0, offen offset:0 // G -> Reg 0_0_4_0
_buffer_load_b32 v[vgprG2LB+5], v[vgprGlobalReadOffsetB+5], s[sgprSrdB:sgprSrdB+3], 0, offen offset:0 // G -> Reg 0_0_5_0
_buffer_load_b32 v[vgprG2LB+6], v[vgprGlobalReadOffsetB+6], s[sgprSrdB:sgprSrdB+3], 0, offen offset:0 // G -> Reg 0_0_6_0
_buffer_load_b32 v[vgprG2LB+7], v[vgprGlobalReadOffsetB+7], s[sgprSrdB:sgprSrdB+3], 0, offen offset:0 // G -> Reg 0_0_7_0
_buffer_load_b32 v[vgprG2LB+8], v[vgprGlobalReadOffsetB+8], s[sgprSrdB:sgprSrdB+3], 0, offen offset:0 // G -> Reg 0_0_8_0
_buffer_load_b32 v[vgprG2LB+9], v[vgprGlobalReadOffsetB+9], s[sgprSrdB:sgprSrdB+3], 0, offen offset:0 // G -> Reg 0_0_9_0
_buffer_load_b32 v[vgprG2LB+10], v[vgprGlobalReadOffsetB+10], s[sgprSrdB:sgprSrdB+3], 0, offen offset:0 // G -> Reg 0_0_10_0
_buffer_load_b32 v[vgprG2LB+11], v[vgprGlobalReadOffsetB+11], s[sgprSrdB:sgprSrdB+3], 0, offen offset:0 // G -> Reg 0_0_11_0
_buffer_load_b32 v[vgprG2LB+12], v[vgprGlobalReadOffsetB+12], s[sgprSrdB:sgprSrdB+3], 0, offen offset:0 // G -> Reg 0_0_12_0
_buffer_load_b32 v[vgprG2LB+13], v[vgprGlobalReadOffsetB+13], s[sgprSrdB:sgprSrdB+3], 0, offen offset:0 // G -> Reg 0_0_13_0
_buffer_load_b32 v[vgprG2LB+14], v[vgprGlobalReadOffsetB+14], s[sgprSrdB:sgprSrdB+3], 0, offen offset:0 // G -> Reg 0_0_14_0
_buffer_load_b32 v[vgprG2LB+15], v[vgprGlobalReadOffsetB+15], s[sgprSrdB:sgprSrdB+3], 0, offen offset:0 // G -> Reg 0_0_15_0
_buffer_load_b32 v[vgprG2LB+16], v[vgprGlobalReadOffsetB+16], s[sgprSrdB:sgprSrdB+3], 0, offen offset:0 // G -> Reg 0_0_16_0
_buffer_load_b32 v[vgprG2LB+17], v[vgprGlobalReadOffsetB+17], s[sgprSrdB:sgprSrdB+3], 0, offen offset:0 // G -> Reg 0_0_17_0
_buffer_load_b32 v[vgprG2LB+18], v[vgprGlobalReadOffsetB+18], s[sgprSrdB:sgprSrdB+3], 0, offen offset:0 // G -> Reg 0_0_18_0
_buffer_load_b32 v[vgprG2LB+19], v[vgprGlobalReadOffsetB+19], s[sgprSrdB:sgprSrdB+3], 0, offen offset:0 // G -> Reg 0_0_19_0
_buffer_load_b32 v[vgprG2LB+20], v[vgprGlobalReadOffsetB+20], s[sgprSrdB:sgprSrdB+3], 0, offen offset:0 // G -> Reg 0_0_20_0
_buffer_load_b32 v[vgprG2LB+21], v[vgprGlobalReadOffsetB+21], s[sgprSrdB:sgprSrdB+3], 0, offen offset:0 // G -> Reg 0_0_21_0
_buffer_load_b32 v[vgprG2LB+22], v[vgprGlobalReadOffsetB+22], s[sgprSrdB:sgprSrdB+3], 0, offen offset:0 // G -> Reg 0_0_22_0
_buffer_load_b32 v[vgprG2LB+23], v[vgprGlobalReadOffsetB+23], s[sgprSrdB:sgprSrdB+3], 0, offen offset:0 // G -> Reg 0_0_23_0
_buffer_load_b32 v[vgprG2LB+24], v[vgprGlobalReadOffsetB+24], s[sgprSrdB:sgprSrdB+3], 0, offen offset:0 // G -> Reg 0_0_24_0
_buffer_load_b32 v[vgprG2LB+25], v[vgprGlobalReadOffsetB+25], s[sgprSrdB:sgprSrdB+3], 0, offen offset:0 // G -> Reg 0_0_25_0
_buffer_load_b32 v[vgprG2LB+26], v[vgprGlobalReadOffsetB+26], s[sgprSrdB:sgprSrdB+3], 0, offen offset:0 // G -> Reg 0_0_26_0
_buffer_load_b32 v[vgprG2LB+27], v[vgprGlobalReadOffsetB+27], s[sgprSrdB:sgprSrdB+3], 0, offen offset:0 // G -> Reg 0_0_27_0
_buffer_load_b32 v[vgprG2LB+28], v[vgprGlobalReadOffsetB+28], s[sgprSrdB:sgprSrdB+3], 0, offen offset:0 // G -> Reg 0_0_28_0
_buffer_load_b32 v[vgprG2LB+29], v[vgprGlobalReadOffsetB+29], s[sgprSrdB:sgprSrdB+3], 0, offen offset:0 // G -> Reg 0_0_29_0
_buffer_load_b32 v[vgprG2LB+30], v[vgprGlobalReadOffsetB+30], s[sgprSrdB:sgprSrdB+3], 0, offen offset:0 // G -> Reg 0_0_30_0
_buffer_load_b32 v[vgprG2LB+31], v[vgprGlobalReadOffsetB+31], s[sgprSrdB:sgprSrdB+3], 0, offen offset:0 // G -> Reg 0_0_31_0


/* global read inc A loopL */
s_add_u32 s60, s[sgprLoopCounterL], 1              // remove pf(1)
s_cmp_eq_u32 s[sgprStaggerUIter], s60              // Is this wrapIter? (pf)
s_cselect_b32 s58, s[sgprWrapUA+0], s[sgprGlobalReadIncsA+0] // incLower <- ?
s_cselect_b32 s59, s[sgprWrapUA+1], 0              // incUpper <- ?
s_add_u32 s[sgprSrdA+0], s[sgprSrdA+0], s58        // gra SRD += inc(lower)
s_addc_u32  s[sgprSrdA+1], s[sgprSrdA+1], s59      // gra SRD += inc(upper)
s_sub_u32 s[sgprShadowLimitA+0], s[sgprShadowLimitA+0], s58 // limit -= inc)
s_subb_u32 s[sgprShadowLimitA+1], s[sgprShadowLimitA+1], s59 // limit -= inc)
s_cmp_eq_u32 s[sgprShadowLimitA+1], 0              // are we within 2^32?
s_cselect_b32 s[sgprSrdA+2], s[sgprShadowLimitA+0], BufferLimitA // Move shadow to real if we are within 2^32

/* global read inc B loopL */
s_add_u32 s60, s[sgprLoopCounterL], 1              // remove pf(1)
s_cmp_eq_u32 s[sgprStaggerUIter], s60              // Is this wrapIter? (pf)
s_cselect_b32 s58, s[sgprWrapUB+0], s[sgprGlobalReadIncsB+0] // incLower <- ?
s_cselect_b32 s59, s[sgprWrapUB+1], 0              // incUpper <- ?
s_add_u32 s[sgprSrdB+0], s[sgprSrdB+0], s58        // gra SRD += inc(lower)
s_addc_u32  s[sgprSrdB+1], s[sgprSrdB+1], s59      // gra SRD += inc(upper)
s_sub_u32 s[sgprShadowLimitB+0], s[sgprShadowLimitB+0], s58 // limit -= inc)
s_subb_u32 s[sgprShadowLimitB+1], s[sgprShadowLimitB+1], s59 // limit -= inc)
s_cmp_eq_u32 s[sgprShadowLimitB+1], 0              // are we within 2^32?
s_cselect_b32 s[sgprSrdB+2], s[sgprShadowLimitB+0], BufferLimitB // Move shadow to real if we are within 2^32


/******************************************/
/* End setupNewTile, isPap=False             */
/******************************************/

ShadowInitStart_10: // 

s_mov_b32 s[sgprSrdD+2], BufferOOB                 // 
s_mov_b32 s[sgprSrdD+3], Srd127_96                 // Set bits 127_96 in post-loop SRD

s_mov_b32 s[sgprSrdC+2], BufferOOB                 // 
s_mov_b32 s[sgprSrdC+3], Srd127_96                 // Set bits 127_96 in post-loop SRD


s_mul_i32 s58, MT1, s[sgprWorkGroup1]              // <- wg1*MT1
s_mul_hi_u32 s57, s58, s[sgprStrideC1J]            // CScale s58 by Stride
s_mul_i32 s56, s58, s[sgprStrideC1J]               // CScale s58 by Stride
s_lshl_b64 s[56:57], s[56:57], 1                   // scale by bpe
s_add_u32 s[sgprSrdC+0], s[sgprSrdC+0], s56        // add lo to SRD
s_addc_u32 s[sgprSrdC+1], s[sgprSrdC+1], s57       // add hi to SRD
s_mul_hi_u32 s57, s58, s[sgprStrideD1J]            // Scale s58 by Stride
s_mul_i32 s56, s58, s[sgprStrideD1J]               // Scale s58 by Stride
s_lshl_b64 s[56:57], s[56:57], 1                   // scale by bpe
s_add_u32 s[sgprSrdD+0], s[sgprSrdD+0], s56        // add lo to SRD
s_addc_u32 s[sgprSrdD+1], s[sgprSrdD+1], s57       // add hi to SRD

s_mul_hi_u32 s57, s[sgprWorkGroup2], s[sgprStrideCK] // CScale s[sgprWorkGroup2] by Stride
s_mul_i32 s56, s[sgprWorkGroup2], s[sgprStrideCK]  // CScale s[sgprWorkGroup2] by Stride
s_lshl_b64 s[56:57], s[56:57], 1                   // scale by bpe
s_add_u32 s[sgprSrdC+0], s[sgprSrdC+0], s56        // add lo to SRD
s_addc_u32 s[sgprSrdC+1], s[sgprSrdC+1], s57       // add hi to SRD
s_mul_hi_u32 s57, s[sgprWorkGroup2], s[sgprStrideDK] // Scale s[sgprWorkGroup2] by Stride
s_mul_i32 s56, s[sgprWorkGroup2], s[sgprStrideDK]  // Scale s[sgprWorkGroup2] by Stride
s_lshl_b64 s[56:57], s[56:57], 1                   // scale by bpe
s_add_u32 s[sgprSrdD+0], s[sgprSrdD+0], s56        // add lo to SRD
s_addc_u32 s[sgprSrdD+1], s[sgprSrdD+1], s57       // add hi to SRD


	;; [unrolled: 1-line block ×3, first 2 shown]
/* initC: remove C-tile 0-0 from pool */

/* initC: remove AB-tile 0-104 from pool */
v_accvgpr_write acc0, 0x0                          // initC
v_accvgpr_write acc1, 0x0                          // initC
v_accvgpr_write acc2, 0x0                          // initC
v_accvgpr_write acc3, 0x0                          // initC
v_accvgpr_write acc4, 0x0                          // initC
v_accvgpr_write acc5, 0x0                          // initC
v_accvgpr_write acc6, 0x0                          // initC
v_accvgpr_write acc7, 0x0                          // initC
v_accvgpr_write acc8, 0x0                          // initC
v_accvgpr_write acc9, 0x0                          // initC
v_accvgpr_write acc10, 0x0                         // initC
v_accvgpr_write acc11, 0x0                         // initC
v_accvgpr_write acc12, 0x0                         // initC
v_accvgpr_write acc13, 0x0                         // initC
v_accvgpr_write acc14, 0x0                         // initC
v_accvgpr_write acc15, 0x0                         // initC
v_accvgpr_write acc16, 0x0                         // initC
v_accvgpr_write acc17, 0x0                         // initC
v_accvgpr_write acc18, 0x0                         // initC
v_accvgpr_write acc19, 0x0                         // initC
v_accvgpr_write acc20, 0x0                         // initC
v_accvgpr_write acc21, 0x0                         // initC
v_accvgpr_write acc22, 0x0                         // initC
v_accvgpr_write acc23, 0x0                         // initC
v_accvgpr_write acc24, 0x0                         // initC
v_accvgpr_write acc25, 0x0                         // initC
v_accvgpr_write acc26, 0x0                         // initC
v_accvgpr_write acc27, 0x0                         // initC
v_accvgpr_write acc28, 0x0                         // initC
v_accvgpr_write acc29, 0x0                         // initC
v_accvgpr_write acc30, 0x0                         // initC
v_accvgpr_write acc31, 0x0                         // initC
v_accvgpr_write acc32, 0x0                         // initC
v_accvgpr_write acc33, 0x0                         // initC
v_accvgpr_write acc34, 0x0                         // initC
v_accvgpr_write acc35, 0x0                         // initC
v_accvgpr_write acc36, 0x0                         // initC
v_accvgpr_write acc37, 0x0                         // initC
v_accvgpr_write acc38, 0x0                         // initC
v_accvgpr_write acc39, 0x0                         // initC
v_accvgpr_write acc40, 0x0                         // initC
v_accvgpr_write acc41, 0x0                         // initC
v_accvgpr_write acc42, 0x0                         // initC
v_accvgpr_write acc43, 0x0                         // initC
v_accvgpr_write acc44, 0x0                         // initC
v_accvgpr_write acc45, 0x0                         // initC
v_accvgpr_write acc46, 0x0                         // initC
v_accvgpr_write acc47, 0x0                         // initC
v_accvgpr_write acc48, 0x0                         // initC
v_accvgpr_write acc49, 0x0                         // initC
v_accvgpr_write acc50, 0x0                         // initC
v_accvgpr_write acc51, 0x0                         // initC
v_accvgpr_write acc52, 0x0                         // initC
v_accvgpr_write acc53, 0x0                         // initC
v_accvgpr_write acc54, 0x0                         // initC
v_accvgpr_write acc55, 0x0                         // initC
v_accvgpr_write acc56, 0x0                         // initC
v_accvgpr_write acc57, 0x0                         // initC
v_accvgpr_write acc58, 0x0                         // initC
v_accvgpr_write acc59, 0x0                         // initC
v_accvgpr_write acc60, 0x0                         // initC
v_accvgpr_write acc61, 0x0                         // initC
v_accvgpr_write acc62, 0x0                         // initC
v_accvgpr_write acc63, 0x0                         // initC
v_accvgpr_write acc64, 0x0                         // initC
v_accvgpr_write acc65, 0x0                         // initC
v_accvgpr_write acc66, 0x0                         // initC
v_accvgpr_write acc67, 0x0                         // initC
v_accvgpr_write acc68, 0x0                         // initC
v_accvgpr_write acc69, 0x0                         // initC
v_accvgpr_write acc70, 0x0                         // initC
v_accvgpr_write acc71, 0x0                         // initC
v_accvgpr_write acc72, 0x0                         // initC
v_accvgpr_write acc73, 0x0                         // initC
v_accvgpr_write acc74, 0x0                         // initC
v_accvgpr_write acc75, 0x0                         // initC
v_accvgpr_write acc76, 0x0                         // initC
v_accvgpr_write acc77, 0x0                         // initC
v_accvgpr_write acc78, 0x0                         // initC
v_accvgpr_write acc79, 0x0                         // initC
v_accvgpr_write acc80, 0x0                         // initC
v_accvgpr_write acc81, 0x0                         // initC
v_accvgpr_write acc82, 0x0                         // initC
v_accvgpr_write acc83, 0x0                         // initC
v_accvgpr_write acc84, 0x0                         // initC
v_accvgpr_write acc85, 0x0                         // initC
v_accvgpr_write acc86, 0x0                         // initC
v_accvgpr_write acc87, 0x0                         // initC
v_accvgpr_write acc88, 0x0                         // initC
v_accvgpr_write acc89, 0x0                         // initC
v_accvgpr_write acc90, 0x0                         // initC
v_accvgpr_write acc91, 0x0                         // initC
v_accvgpr_write acc92, 0x0                         // initC
v_accvgpr_write acc93, 0x0                         // initC
v_accvgpr_write acc94, 0x0                         // initC
v_accvgpr_write acc95, 0x0                         // initC
v_accvgpr_write acc96, 0x0                         // initC
v_accvgpr_write acc97, 0x0                         // initC
v_accvgpr_write acc98, 0x0                         // initC
v_accvgpr_write acc99, 0x0                         // initC
v_accvgpr_write acc100, 0x0                        // initC
v_accvgpr_write acc101, 0x0                        // initC
v_accvgpr_write acc102, 0x0                        // initC
v_accvgpr_write acc103, 0x0                        // initC
v_accvgpr_write acc104, 0x0                        // initC
v_accvgpr_write acc105, 0x0                        // initC
v_accvgpr_write acc106, 0x0                        // initC
v_accvgpr_write acc107, 0x0                        // initC
v_accvgpr_write acc108, 0x0                        // initC
v_accvgpr_write acc109, 0x0                        // initC
v_accvgpr_write acc110, 0x0                        // initC
v_accvgpr_write acc111, 0x0                        // initC
v_accvgpr_write acc112, 0x0                        // initC
v_accvgpr_write acc113, 0x0                        // initC
v_accvgpr_write acc114, 0x0                        // initC
v_accvgpr_write acc115, 0x0                        // initC
v_accvgpr_write acc116, 0x0                        // initC
v_accvgpr_write acc117, 0x0                        // initC
v_accvgpr_write acc118, 0x0                        // initC
v_accvgpr_write acc119, 0x0                        // initC
v_accvgpr_write acc120, 0x0                        // initC
v_accvgpr_write acc121, 0x0                        // initC
v_accvgpr_write acc122, 0x0                        // initC
v_accvgpr_write acc123, 0x0                        // initC
v_accvgpr_write acc124, 0x0                        // initC
v_accvgpr_write acc125, 0x0                        // initC
v_accvgpr_write acc126, 0x0                        // initC
v_accvgpr_write acc127, 0x0                        // initC
v_accvgpr_write acc128, 0x0                        // initC
v_accvgpr_write acc129, 0x0                        // initC
v_accvgpr_write acc130, 0x0                        // initC
v_accvgpr_write acc131, 0x0                        // initC
v_accvgpr_write acc132, 0x0                        // initC
v_accvgpr_write acc133, 0x0                        // initC
v_accvgpr_write acc134, 0x0                        // initC
v_accvgpr_write acc135, 0x0                        // initC
v_accvgpr_write acc136, 0x0                        // initC
v_accvgpr_write acc137, 0x0                        // initC
v_accvgpr_write acc138, 0x0                        // initC
v_accvgpr_write acc139, 0x0                        // initC
v_accvgpr_write acc140, 0x0                        // initC
v_accvgpr_write acc141, 0x0                        // initC
v_accvgpr_write acc142, 0x0                        // initC
v_accvgpr_write acc143, 0x0                        // initC

s_cmp_eq_u32 s[sgprLoopCounterL], 0                // at last iteration?

/* after InitC, skip to end of prefetch last iter if numIter==0 */
s_cbranch_scc0 label_NoBranch_11                   // Only branch on scc1
s_getpc_B64 s[56:57]                               // addr of next instr
s_add_i32 s58, PrefetchGlobalLastIterEnd_5, 0x4    // target branch offset
s_add_u32 s56, s56, s58                            // add target branch offset
s_addc_u32 s57, s57, 0                             // add high and carry
s_setpc_b64 s[56:57]                               // branch to PrefetchGlobalLastIterEnd_5
label_NoBranch_11:

s_waitcnt vmcnt(0)                                 // lgkmcnt=-1 vmcnt=0 8wait for global read


/* local write a */
_ds_store_b32 v[vgprLocalWriteAddrA], v[vgprG2LA+0] offset:0 // lwoA_0_0_0_0 = (0*LSCA)*(MT0I+PAD) + (0*LSPA) = 0
_ds_store_b32 v[vgprLocalWriteAddrA], v[vgprG2LA+1] offset:320 // lwoA_0_0_1_0 = (0*LSCA)*(MT0I+PAD) + (1*LSPA) = 320
_ds_store_b32 v[vgprLocalWriteAddrA], v[vgprG2LA+2] offset:640 // lwoA_0_0_2_0 = (0*LSCA)*(MT0I+PAD) + (2*LSPA) = 640
_ds_store_b32 v[vgprLocalWriteAddrA], v[vgprG2LA+3] offset:960 // lwoA_0_0_3_0 = (0*LSCA)*(MT0I+PAD) + (3*LSPA) = 960
_ds_store_b32 v[vgprLocalWriteAddrA], v[vgprG2LA+4] offset:1280 // lwoA_0_0_4_0 = (0*LSCA)*(MT0I+PAD) + (4*LSPA) = 1280
_ds_store_b32 v[vgprLocalWriteAddrA], v[vgprG2LA+5] offset:1600 // lwoA_0_0_5_0 = (0*LSCA)*(MT0I+PAD) + (5*LSPA) = 1600
_ds_store_b32 v[vgprLocalWriteAddrA], v[vgprG2LA+6] offset:1920 // lwoA_0_0_6_0 = (0*LSCA)*(MT0I+PAD) + (6*LSPA) = 1920
_ds_store_b32 v[vgprLocalWriteAddrA], v[vgprG2LA+7] offset:2240 // lwoA_0_0_7_0 = (0*LSCA)*(MT0I+PAD) + (7*LSPA) = 2240
_ds_store_b32 v[vgprLocalWriteAddrA], v[vgprG2LA+8] offset:2560 // lwoA_0_0_8_0 = (0*LSCA)*(MT0I+PAD) + (8*LSPA) = 2560
_ds_store_b32 v[vgprLocalWriteAddrA], v[vgprG2LA+9] offset:2880 // lwoA_0_0_9_0 = (0*LSCA)*(MT0I+PAD) + (9*LSPA) = 2880
_ds_store_b32 v[vgprLocalWriteAddrA], v[vgprG2LA+10] offset:3200 // lwoA_0_0_10_0 = (0*LSCA)*(MT0I+PAD) + (10*LSPA) = 3200
_ds_store_b32 v[vgprLocalWriteAddrA], v[vgprG2LA+11] offset:3520 // lwoA_0_0_11_0 = (0*LSCA)*(MT0I+PAD) + (11*LSPA) = 3520
_ds_store_b32 v[vgprLocalWriteAddrA], v[vgprG2LA+12] offset:3840 // lwoA_0_0_12_0 = (0*LSCA)*(MT0I+PAD) + (12*LSPA) = 3840
_ds_store_b32 v[vgprLocalWriteAddrA], v[vgprG2LA+13] offset:4160 // lwoA_0_0_13_0 = (0*LSCA)*(MT0I+PAD) + (13*LSPA) = 4160
_ds_store_b32 v[vgprLocalWriteAddrA], v[vgprG2LA+14] offset:4480 // lwoA_0_0_14_0 = (0*LSCA)*(MT0I+PAD) + (14*LSPA) = 4480
_ds_store_b32 v[vgprLocalWriteAddrA], v[vgprG2LA+15] offset:4800 // lwoA_0_0_15_0 = (0*LSCA)*(MT0I+PAD) + (15*LSPA) = 4800
_ds_store_b32 v[vgprLocalWriteAddrA], v[vgprG2LA+16] offset:5120 // lwoA_0_0_16_0 = (0*LSCA)*(MT0I+PAD) + (16*LSPA) = 5120
_ds_store_b32 v[vgprLocalWriteAddrA], v[vgprG2LA+17] offset:5440 // lwoA_0_0_17_0 = (0*LSCA)*(MT0I+PAD) + (17*LSPA) = 5440

/* local write b */
_ds_store_b32 v[vgprLocalWriteAddrB], v[vgprG2LB+0] offset:0 // lwoB_0_0_0_0 = (0*LSCB)*(MT1J+PAD) + (0*LSPB) = 0
_ds_store_b32 v[vgprLocalWriteAddrB], v[vgprG2LB+1] offset:320 // lwoB_0_0_1_0 = (0*LSCB)*(MT1J+PAD) + (1*LSPB) = 320
_ds_store_b32 v[vgprLocalWriteAddrB], v[vgprG2LB+2] offset:640 // lwoB_0_0_2_0 = (0*LSCB)*(MT1J+PAD) + (2*LSPB) = 640
_ds_store_b32 v[vgprLocalWriteAddrB], v[vgprG2LB+3] offset:960 // lwoB_0_0_3_0 = (0*LSCB)*(MT1J+PAD) + (3*LSPB) = 960
_ds_store_b32 v[vgprLocalWriteAddrB], v[vgprG2LB+4] offset:1280 // lwoB_0_0_4_0 = (0*LSCB)*(MT1J+PAD) + (4*LSPB) = 1280
_ds_store_b32 v[vgprLocalWriteAddrB], v[vgprG2LB+5] offset:1600 // lwoB_0_0_5_0 = (0*LSCB)*(MT1J+PAD) + (5*LSPB) = 1600
_ds_store_b32 v[vgprLocalWriteAddrB], v[vgprG2LB+6] offset:1920 // lwoB_0_0_6_0 = (0*LSCB)*(MT1J+PAD) + (6*LSPB) = 1920
_ds_store_b32 v[vgprLocalWriteAddrB], v[vgprG2LB+7] offset:2240 // lwoB_0_0_7_0 = (0*LSCB)*(MT1J+PAD) + (7*LSPB) = 2240
_ds_store_b32 v[vgprLocalWriteAddrB], v[vgprG2LB+8] offset:2560 // lwoB_0_0_8_0 = (0*LSCB)*(MT1J+PAD) + (8*LSPB) = 2560
_ds_store_b32 v[vgprLocalWriteAddrB], v[vgprG2LB+9] offset:2880 // lwoB_0_0_9_0 = (0*LSCB)*(MT1J+PAD) + (9*LSPB) = 2880
_ds_store_b32 v[vgprLocalWriteAddrB], v[vgprG2LB+10] offset:3200 // lwoB_0_0_10_0 = (0*LSCB)*(MT1J+PAD) + (10*LSPB) = 3200
_ds_store_b32 v[vgprLocalWriteAddrB], v[vgprG2LB+11] offset:3520 // lwoB_0_0_11_0 = (0*LSCB)*(MT1J+PAD) + (11*LSPB) = 3520
_ds_store_b32 v[vgprLocalWriteAddrB], v[vgprG2LB+12] offset:3840 // lwoB_0_0_12_0 = (0*LSCB)*(MT1J+PAD) + (12*LSPB) = 3840
_ds_store_b32 v[vgprLocalWriteAddrB], v[vgprG2LB+13] offset:4160 // lwoB_0_0_13_0 = (0*LSCB)*(MT1J+PAD) + (13*LSPB) = 4160
_ds_store_b32 v[vgprLocalWriteAddrB], v[vgprG2LB+14] offset:4480 // lwoB_0_0_14_0 = (0*LSCB)*(MT1J+PAD) + (14*LSPB) = 4480
_ds_store_b32 v[vgprLocalWriteAddrB], v[vgprG2LB+15] offset:4800 // lwoB_0_0_15_0 = (0*LSCB)*(MT1J+PAD) + (15*LSPB) = 4800
_ds_store_b32 v[vgprLocalWriteAddrB], v[vgprG2LB+16] offset:5120 // lwoB_0_0_16_0 = (0*LSCB)*(MT1J+PAD) + (16*LSPB) = 5120
_ds_store_b32 v[vgprLocalWriteAddrB], v[vgprG2LB+17] offset:5440 // lwoB_0_0_17_0 = (0*LSCB)*(MT1J+PAD) + (17*LSPB) = 5440
_ds_store_b32 v[vgprLocalWriteAddrB], v[vgprG2LB+18] offset:5760 // lwoB_0_0_18_0 = (0*LSCB)*(MT1J+PAD) + (18*LSPB) = 5760
_ds_store_b32 v[vgprLocalWriteAddrB], v[vgprG2LB+19] offset:6080 // lwoB_0_0_19_0 = (0*LSCB)*(MT1J+PAD) + (19*LSPB) = 6080
_ds_store_b32 v[vgprLocalWriteAddrB], v[vgprG2LB+20] offset:6400 // lwoB_0_0_20_0 = (0*LSCB)*(MT1J+PAD) + (20*LSPB) = 6400
_ds_store_b32 v[vgprLocalWriteAddrB], v[vgprG2LB+21] offset:6720 // lwoB_0_0_21_0 = (0*LSCB)*(MT1J+PAD) + (21*LSPB) = 6720
_ds_store_b32 v[vgprLocalWriteAddrB], v[vgprG2LB+22] offset:7040 // lwoB_0_0_22_0 = (0*LSCB)*(MT1J+PAD) + (22*LSPB) = 7040
_ds_store_b32 v[vgprLocalWriteAddrB], v[vgprG2LB+23] offset:7360 // lwoB_0_0_23_0 = (0*LSCB)*(MT1J+PAD) + (23*LSPB) = 7360
_ds_store_b32 v[vgprLocalWriteAddrB], v[vgprG2LB+24] offset:7680 // lwoB_0_0_24_0 = (0*LSCB)*(MT1J+PAD) + (24*LSPB) = 7680
_ds_store_b32 v[vgprLocalWriteAddrB], v[vgprG2LB+25] offset:8000 // lwoB_0_0_25_0 = (0*LSCB)*(MT1J+PAD) + (25*LSPB) = 8000
_ds_store_b32 v[vgprLocalWriteAddrB], v[vgprG2LB+26] offset:8320 // lwoB_0_0_26_0 = (0*LSCB)*(MT1J+PAD) + (26*LSPB) = 8320
_ds_store_b32 v[vgprLocalWriteAddrB], v[vgprG2LB+27] offset:8640 // lwoB_0_0_27_0 = (0*LSCB)*(MT1J+PAD) + (27*LSPB) = 8640
_ds_store_b32 v[vgprLocalWriteAddrB], v[vgprG2LB+28] offset:8960 // lwoB_0_0_28_0 = (0*LSCB)*(MT1J+PAD) + (28*LSPB) = 8960
_ds_store_b32 v[vgprLocalWriteAddrB], v[vgprG2LB+29] offset:9280 // lwoB_0_0_29_0 = (0*LSCB)*(MT1J+PAD) + (29*LSPB) = 9280
_ds_store_b32 v[vgprLocalWriteAddrB], v[vgprG2LB+30] offset:9600 // lwoB_0_0_30_0 = (0*LSCB)*(MT1J+PAD) + (30*LSPB) = 9600
_ds_store_b32 v[vgprLocalWriteAddrB], v[vgprG2LB+31] offset:9920 // lwoB_0_0_31_0 = (0*LSCB)*(MT1J+PAD) + (31*LSPB) = 9920


/* local write swap a */


	;; [unrolled: 1-line block ×3, first 2 shown]
/* local write swap b */


	;; [unrolled: 1-line block ×4, first 2 shown]
s_waitcnt lgkmcnt(0)                               // lgkmcnt=0 vmcnt=-10prefetch wait for local write

s_waitcnt lgkmcnt(0) & vmcnt(0)                    // force waitcnt0
s_barrier //


/* local read prefetch a */

_ds_load_b128 v[vgprValuA_X0_I0+0:vgprValuA_X0_I0+0+3], v[vgprLocalReadAddrA] offset:0 // L -> Reg lro=0 swapByteOffset=0 ti=16 vIdx=0 rIdx=0 oIdx=0 buffer=0 iui=0
_ds_load_b128 v[vgprValuA_X0_I0+4:vgprValuA_X0_I0+4+3], v[vgprLocalReadAddrA] offset:2560 // L -> Reg lro=0 swapByteOffset=0 ti=16 vIdx=1 rIdx=0 oIdx=0 buffer=0 iui=0
	;; [unrolled: 1-line block ×9, first 2 shown]


/* local read prefetch b */

_ds_load_b128 v[vgprValuB_X0_I0+0:vgprValuB_X0_I0+0+3], v[vgprLocalReadAddrB] offset:0 // L -> Reg lro=0 swapByteOffset=0 ti=128 vIdx=0 rIdx=0 oIdx=0 buffer=0 iui=0
_ds_load_b128 v[vgprValuB_X0_I0+4:vgprValuB_X0_I0+4+3], v[vgprLocalReadAddrB] offset:160 // L -> Reg lro=0 swapByteOffset=0 ti=128 vIdx=0 rIdx=0 oIdx=0 buffer=0 iui=0
	;; [unrolled: 1-line block ×4, first 2 shown]


/* local read inc a */

/* N/A, lro->32 */
/* self.localReadDoCntA 1 self.localReadDoCntB 1 */


/* local read inc b */

/* N/A, lro->32 */
/* self.localReadDoCntA 1 self.localReadDoCntB 1 */


	;; [unrolled: 1-line block ×3, first 2 shown]
/******************************************/
/* Unrolled Loop(s) - Begin               */
/******************************************/

openLoopL_12:
s_cmp_le_u32 s[sgprLoopCounterL], 0x1              // LoopCounterL < EndCounter
s_cbranch_scc1 LoopEndL_2                          // do not enter LoopL
LoopBeginL_1:


/******************************************/
/* Unrolled Loop 1/2 - Begin              */
/******************************************/

label_0013: // LoopCopy1 


/* Begin Each Unroll: Check VGPR.checkin for INT8 LW */


	;; [unrolled: 1-line block ×3, first 2 shown]
/* iter 0 */

/*  grEndMfmaIndex:49, lwStartMfmaIndex:74, lwEndMfmaIndex:123  */
/*  numMfmaForLR:17, barrierMfmaIndex:126 */
/*  mfmaIndex:0  */
_buffer_load_b32 v[vgprG2LA+0], v[vgprGlobalReadOffsetA+0], s[sgprSrdA:sgprSrdA+3], 0, offen offset:0 // G -> Reg 0_0_0_0
s_waitcnt lgkmcnt(0)                               // lgkmcnt=0 vmcnt=-1wait for prior local read local write old=0, new=0 newLW=0 newLR=0
v_mfma_f32_16x16x16f16 a[0+0:3+0], v[vgprValuA_X0_I0+0+0+0:vgprValuA_X0_I0+0+0+0+1], v[vgprValuB_X0_I0+0+0+0:vgprValuB_X0_I0+0+0+0+1], a[0:3]
/*  mfmaIndex:1  */
_ds_load_b128 v[vgprValuA_X2_I0+0:vgprValuA_X2_I0+0+3], v[vgprLocalReadAddrA] offset:64 // L -> Reg lro=32 swapByteOffset=0 ti=16 vIdx=0 rIdx=0 oIdx=0 buffer=2 iui=0
_buffer_load_b32 v[vgprG2LA+1], v[vgprGlobalReadOffsetA+1], s[sgprSrdA:sgprSrdA+3], 0, offen offset:0 // G -> Reg 0_0_1_0
v_mfma_f32_16x16x16f16 a[4+0:7+0], v[vgprValuA_X0_I0+4+0+0:vgprValuA_X0_I0+4+0+0+1], v[vgprValuB_X0_I0+0+0+0:vgprValuB_X0_I0+0+0+0+1], a[4:7]
/*  mfmaIndex:2  */
_ds_load_b128 v[vgprValuB_X2_I0+0:vgprValuB_X2_I0+0+3], v[vgprLocalReadAddrB] offset:64 // L -> Reg lro=32 swapByteOffset=0 ti=128 vIdx=0 rIdx=0 oIdx=0 buffer=2 iui=0
_buffer_load_b32 v[vgprG2LA+2], v[vgprGlobalReadOffsetA+2], s[sgprSrdA:sgprSrdA+3], 0, offen offset:0 // G -> Reg 0_0_2_0
v_mfma_f32_16x16x16f16 a[8+0:11+0], v[vgprValuA_X0_I0+8+0+0:vgprValuA_X0_I0+8+0+0+1], v[vgprValuB_X0_I0+0+0+0:vgprValuB_X0_I0+0+0+0+1], a[8:11]
/*  mfmaIndex:3  */
_ds_load_b128 v[vgprValuA_X2_I0+4:vgprValuA_X2_I0+4+3], v[vgprLocalReadAddrA] offset:2624 // L -> Reg lro=32 swapByteOffset=0 ti=16 vIdx=1 rIdx=0 oIdx=0 buffer=2 iui=0
_buffer_load_b32 v[vgprG2LA+3], v[vgprGlobalReadOffsetA+3], s[sgprSrdA:sgprSrdA+3], 0, offen offset:0 // G -> Reg 0_0_3_0
v_mfma_f32_16x16x16f16 a[12+0:15+0], v[vgprValuA_X0_I0+12+0+0:vgprValuA_X0_I0+12+0+0+1], v[vgprValuB_X0_I0+0+0+0:vgprValuB_X0_I0+0+0+0+1], a[12:15]
/*  mfmaIndex:4  */
_ds_load_b128 v[vgprValuA_X2_I0+8:vgprValuA_X2_I0+8+3], v[vgprLocalReadAddrA] offset:5184 // L -> Reg lro=32 swapByteOffset=0 ti=16 vIdx=2 rIdx=0 oIdx=0 buffer=2 iui=0
_buffer_load_b32 v[vgprG2LA+4], v[vgprGlobalReadOffsetA+4], s[sgprSrdA:sgprSrdA+3], 0, offen offset:0 // G -> Reg 0_0_4_0
v_mfma_f32_16x16x16f16 a[16+0:19+0], v[vgprValuA_X0_I0+16+0+0:vgprValuA_X0_I0+16+0+0+1], v[vgprValuB_X0_I0+0+0+0:vgprValuB_X0_I0+0+0+0+1], a[16:19]
/*  mfmaIndex:5  */
_ds_load_b128 v[vgprValuA_X2_I0+12:vgprValuA_X2_I0+12+3], v[vgprLocalReadAddrA] offset:7744 // L -> Reg lro=32 swapByteOffset=0 ti=16 vIdx=3 rIdx=0 oIdx=0 buffer=2 iui=0
_buffer_load_b32 v[vgprG2LA+5], v[vgprGlobalReadOffsetA+5], s[sgprSrdA:sgprSrdA+3], 0, offen offset:0 // G -> Reg 0_0_5_0
v_mfma_f32_16x16x16f16 a[20+0:23+0], v[vgprValuA_X0_I0+20+0+0:vgprValuA_X0_I0+20+0+0+1], v[vgprValuB_X0_I0+0+0+0:vgprValuB_X0_I0+0+0+0+1], a[20:23]
/*  mfmaIndex:6  */
_ds_load_b128 v[vgprValuA_X2_I0+16:vgprValuA_X2_I0+16+3], v[vgprLocalReadAddrA] offset:10304 // L -> Reg lro=32 swapByteOffset=0 ti=16 vIdx=4 rIdx=0 oIdx=0 buffer=2 iui=0
_buffer_load_b32 v[vgprG2LA+6], v[vgprGlobalReadOffsetA+6], s[sgprSrdA:sgprSrdA+3], 0, offen offset:0 // G -> Reg 0_0_6_0
v_mfma_f32_16x16x16f16 a[24+0:27+0], v[vgprValuA_X0_I0+24+0+0:vgprValuA_X0_I0+24+0+0+1], v[vgprValuB_X0_I0+0+0+0:vgprValuB_X0_I0+0+0+0+1], a[24:27]
/*  mfmaIndex:7  */
_ds_load_b128 v[vgprValuA_X2_I0+20:vgprValuA_X2_I0+20+3], v[vgprLocalReadAddrA] offset:12864 // L -> Reg lro=32 swapByteOffset=0 ti=16 vIdx=5 rIdx=0 oIdx=0 buffer=2 iui=0
_buffer_load_b32 v[vgprG2LA+7], v[vgprGlobalReadOffsetA+7], s[sgprSrdA:sgprSrdA+3], 0, offen offset:0 // G -> Reg 0_0_7_0
v_mfma_f32_16x16x16f16 a[28+0:31+0], v[vgprValuA_X0_I0+28+0+0:vgprValuA_X0_I0+28+0+0+1], v[vgprValuB_X0_I0+0+0+0:vgprValuB_X0_I0+0+0+0+1], a[28:31]
/*  mfmaIndex:8  */
_ds_load_b128 v[vgprValuA_X2_I0+24:vgprValuA_X2_I0+24+3], v[vgprLocalReadAddrA] offset:15424 // L -> Reg lro=32 swapByteOffset=0 ti=16 vIdx=6 rIdx=0 oIdx=0 buffer=2 iui=0
_buffer_load_b32 v[vgprG2LA+8], v[vgprGlobalReadOffsetA+8], s[sgprSrdA:sgprSrdA+3], 0, offen offset:0 // G -> Reg 0_0_8_0
v_mfma_f32_16x16x16f16 a[32+0:35+0], v[vgprValuA_X0_I0+32+0+0:vgprValuA_X0_I0+32+0+0+1], v[vgprValuB_X0_I0+0+0+0:vgprValuB_X0_I0+0+0+0+1], a[32:35]
/*  mfmaIndex:9  */
_ds_load_b128 v[vgprValuA_X2_I0+28:vgprValuA_X2_I0+28+3], v[vgprLocalReadAddrA] offset:17984 // L -> Reg lro=32 swapByteOffset=0 ti=16 vIdx=7 rIdx=0 oIdx=0 buffer=2 iui=0
_buffer_load_b32 v[vgprG2LA+9], v[vgprGlobalReadOffsetA+9], s[sgprSrdA:sgprSrdA+3], 0, offen offset:0 // G -> Reg 0_0_9_0
v_mfma_f32_16x16x16f16 a[68+0:71+0], v[vgprValuA_X0_I0+32+0+0:vgprValuA_X0_I0+32+0+0+1], v[vgprValuB_X0_I0+4+0+0:vgprValuB_X0_I0+4+0+0+1], a[68:71]
/*  mfmaIndex:10  */
_ds_load_b128 v[vgprValuA_X2_I0+32:vgprValuA_X2_I0+32+3], v[vgprLocalReadAddrA] offset:20544 // L -> Reg lro=32 swapByteOffset=0 ti=16 vIdx=8 rIdx=0 oIdx=0 buffer=2 iui=0
_buffer_load_b32 v[vgprG2LA+10], v[vgprGlobalReadOffsetA+10], s[sgprSrdA:sgprSrdA+3], 0, offen offset:0 // G -> Reg 0_0_10_0
v_mfma_f32_16x16x16f16 a[64+0:67+0], v[vgprValuA_X0_I0+28+0+0:vgprValuA_X0_I0+28+0+0+1], v[vgprValuB_X0_I0+4+0+0:vgprValuB_X0_I0+4+0+0+1], a[64:67]
/*  mfmaIndex:11  */
_ds_load_b128 v[vgprValuB_X2_I0+4:vgprValuB_X2_I0+4+3], v[vgprLocalReadAddrB] offset:224 // L -> Reg lro=32 swapByteOffset=0 ti=128 vIdx=0 rIdx=0 oIdx=0 buffer=2 iui=0
_buffer_load_b32 v[vgprG2LA+11], v[vgprGlobalReadOffsetA+11], s[sgprSrdA:sgprSrdA+3], 0, offen offset:0 // G -> Reg 0_0_11_0
v_mfma_f32_16x16x16f16 a[60+0:63+0], v[vgprValuA_X0_I0+24+0+0:vgprValuA_X0_I0+24+0+0+1], v[vgprValuB_X0_I0+4+0+0:vgprValuB_X0_I0+4+0+0+1], a[60:63]
/*  mfmaIndex:12  */
_ds_load_b128 v[vgprValuB_X2_I0+8:vgprValuB_X2_I0+8+3], v[vgprLocalReadAddrB] offset:20544 // L -> Reg lro=32 swapByteOffset=0 ti=128 vIdx=1 rIdx=0 oIdx=0 buffer=2 iui=0
_buffer_load_b32 v[vgprG2LA+12], v[vgprGlobalReadOffsetA+12], s[sgprSrdA:sgprSrdA+3], 0, offen offset:0 // G -> Reg 0_0_12_0
v_mfma_f32_16x16x16f16 a[56+0:59+0], v[vgprValuA_X0_I0+20+0+0:vgprValuA_X0_I0+20+0+0+1], v[vgprValuB_X0_I0+4+0+0:vgprValuB_X0_I0+4+0+0+1], a[56:59]
/*  mfmaIndex:13  */
_ds_load_b128 v[vgprValuB_X2_I0+12:vgprValuB_X2_I0+12+3], v[vgprLocalReadAddrB] offset:20704 // L -> Reg lro=32 swapByteOffset=0 ti=128 vIdx=1 rIdx=0 oIdx=0 buffer=2 iui=0
/* localReadsVacancy: latencyLeft 1 */
_buffer_load_b32 v[vgprG2LA+13], v[vgprGlobalReadOffsetA+13], s[sgprSrdA:sgprSrdA+3], 0, offen offset:0 // G -> Reg 0_0_13_0
v_mfma_f32_16x16x16f16 a[52+0:55+0], v[vgprValuA_X0_I0+16+0+0:vgprValuA_X0_I0+16+0+0+1], v[vgprValuB_X0_I0+4+0+0:vgprValuB_X0_I0+4+0+0+1], a[52:55]
/*  mfmaIndex:14  */
/* localReadsVacancy: latencyLeft 5 */
_buffer_load_b32 v[vgprG2LA+14], v[vgprGlobalReadOffsetA+14], s[sgprSrdA:sgprSrdA+3], 0, offen offset:0 // G -> Reg 0_0_14_0
v_mfma_f32_16x16x16f16 a[48+0:51+0], v[vgprValuA_X0_I0+12+0+0:vgprValuA_X0_I0+12+0+0+1], v[vgprValuB_X0_I0+4+0+0:vgprValuB_X0_I0+4+0+0+1], a[48:51]
/*  mfmaIndex:15  */
/* localReadsVacancy: latencyLeft 5 */
_buffer_load_b32 v[vgprG2LA+15], v[vgprGlobalReadOffsetA+15], s[sgprSrdA:sgprSrdA+3], 0, offen offset:0 // G -> Reg 0_0_15_0
v_mfma_f32_16x16x16f16 a[44+0:47+0], v[vgprValuA_X0_I0+8+0+0:vgprValuA_X0_I0+8+0+0+1], v[vgprValuB_X0_I0+4+0+0:vgprValuB_X0_I0+4+0+0+1], a[44:47]
/*  mfmaIndex:16  */
/* localReadsVacancy: latencyLeft 5 */
_buffer_load_b32 v[vgprG2LA+16], v[vgprGlobalReadOffsetA+16], s[sgprSrdA:sgprSrdA+3], 0, offen offset:0 // G -> Reg 0_0_16_0
v_mfma_f32_16x16x16f16 a[40+0:43+0], v[vgprValuA_X0_I0+4+0+0:vgprValuA_X0_I0+4+0+0+1], v[vgprValuB_X0_I0+4+0+0:vgprValuB_X0_I0+4+0+0+1], a[40:43]
/*  mfmaIndex:17  */
/* localReadsVacancy: latencyLeft 5 */
_buffer_load_b32 v[vgprG2LA+17], v[vgprGlobalReadOffsetA+17], s[sgprSrdA:sgprSrdA+3], 0, offen offset:0 // G -> Reg 0_0_17_0
v_mfma_f32_16x16x16f16 a[36+0:39+0], v[vgprValuA_X0_I0+0+0+0:vgprValuA_X0_I0+0+0+0+1], v[vgprValuB_X0_I0+4+0+0:vgprValuB_X0_I0+4+0+0+1], a[36:39]
/*  mfmaIndex:18  */
/* localReadsVacancy: latencyLeft 5 */
_buffer_load_b32 v[vgprG2LB+0], v[vgprGlobalReadOffsetB+0], s[sgprSrdB:sgprSrdB+3], 0, offen offset:0 // G -> Reg 0_0_0_0
v_mfma_f32_16x16x16f16 a[72+0:75+0], v[vgprValuA_X0_I0+0+0+0:vgprValuA_X0_I0+0+0+0+1], v[vgprValuB_X0_I0+8+0+0:vgprValuB_X0_I0+8+0+0+1], a[72:75]
/*  mfmaIndex:19  */
/* localReadsVacancy: latencyLeft 5 */
_buffer_load_b32 v[vgprG2LB+1], v[vgprGlobalReadOffsetB+1], s[sgprSrdB:sgprSrdB+3], 0, offen offset:0 // G -> Reg 0_0_1_0
v_mfma_f32_16x16x16f16 a[76+0:79+0], v[vgprValuA_X0_I0+4+0+0:vgprValuA_X0_I0+4+0+0+1], v[vgprValuB_X0_I0+8+0+0:vgprValuB_X0_I0+8+0+0+1], a[76:79]
/*  mfmaIndex:20  */
/* localReadsVacancy: latencyLeft 5 */
_buffer_load_b32 v[vgprG2LB+2], v[vgprGlobalReadOffsetB+2], s[sgprSrdB:sgprSrdB+3], 0, offen offset:0 // G -> Reg 0_0_2_0
v_mfma_f32_16x16x16f16 a[80+0:83+0], v[vgprValuA_X0_I0+8+0+0:vgprValuA_X0_I0+8+0+0+1], v[vgprValuB_X0_I0+8+0+0:vgprValuB_X0_I0+8+0+0+1], a[80:83]
/*  mfmaIndex:21  */
/* localReadsVacancy: latencyLeft 5 */
_buffer_load_b32 v[vgprG2LB+3], v[vgprGlobalReadOffsetB+3], s[sgprSrdB:sgprSrdB+3], 0, offen offset:0 // G -> Reg 0_0_3_0
v_mfma_f32_16x16x16f16 a[84+0:87+0], v[vgprValuA_X0_I0+12+0+0:vgprValuA_X0_I0+12+0+0+1], v[vgprValuB_X0_I0+8+0+0:vgprValuB_X0_I0+8+0+0+1], a[84:87]
/*  mfmaIndex:22  */
/* localReadsVacancy: latencyLeft 5 */
_buffer_load_b32 v[vgprG2LB+4], v[vgprGlobalReadOffsetB+4], s[sgprSrdB:sgprSrdB+3], 0, offen offset:0 // G -> Reg 0_0_4_0
v_mfma_f32_16x16x16f16 a[88+0:91+0], v[vgprValuA_X0_I0+16+0+0:vgprValuA_X0_I0+16+0+0+1], v[vgprValuB_X0_I0+8+0+0:vgprValuB_X0_I0+8+0+0+1], a[88:91]
/*  mfmaIndex:23  */
/* localReadsVacancy: latencyLeft 5 */
_buffer_load_b32 v[vgprG2LB+5], v[vgprGlobalReadOffsetB+5], s[sgprSrdB:sgprSrdB+3], 0, offen offset:0 // G -> Reg 0_0_5_0
v_mfma_f32_16x16x16f16 a[92+0:95+0], v[vgprValuA_X0_I0+20+0+0:vgprValuA_X0_I0+20+0+0+1], v[vgprValuB_X0_I0+8+0+0:vgprValuB_X0_I0+8+0+0+1], a[92:95]
/*  mfmaIndex:24  */
/* localReadsVacancy: latencyLeft 5 */
_buffer_load_b32 v[vgprG2LB+6], v[vgprGlobalReadOffsetB+6], s[sgprSrdB:sgprSrdB+3], 0, offen offset:0 // G -> Reg 0_0_6_0
v_mfma_f32_16x16x16f16 a[96+0:99+0], v[vgprValuA_X0_I0+24+0+0:vgprValuA_X0_I0+24+0+0+1], v[vgprValuB_X0_I0+8+0+0:vgprValuB_X0_I0+8+0+0+1], a[96:99]
/*  mfmaIndex:25  */
/* localReadsVacancy: latencyLeft 5 */
_buffer_load_b32 v[vgprG2LB+7], v[vgprGlobalReadOffsetB+7], s[sgprSrdB:sgprSrdB+3], 0, offen offset:0 // G -> Reg 0_0_7_0
v_mfma_f32_16x16x16f16 a[100+0:103+0], v[vgprValuA_X0_I0+28+0+0:vgprValuA_X0_I0+28+0+0+1], v[vgprValuB_X0_I0+8+0+0:vgprValuB_X0_I0+8+0+0+1], a[100:103]
/*  mfmaIndex:26  */
/* localReadsVacancy: latencyLeft 5 */
_buffer_load_b32 v[vgprG2LB+8], v[vgprGlobalReadOffsetB+8], s[sgprSrdB:sgprSrdB+3], 0, offen offset:0 // G -> Reg 0_0_8_0
v_mfma_f32_16x16x16f16 a[104+0:107+0], v[vgprValuA_X0_I0+32+0+0:vgprValuA_X0_I0+32+0+0+1], v[vgprValuB_X0_I0+8+0+0:vgprValuB_X0_I0+8+0+0+1], a[104:107]
/*  mfmaIndex:27  */
/* localReadsVacancy: latencyLeft 5 */
_buffer_load_b32 v[vgprG2LB+9], v[vgprGlobalReadOffsetB+9], s[sgprSrdB:sgprSrdB+3], 0, offen offset:0 // G -> Reg 0_0_9_0
v_mfma_f32_16x16x16f16 a[140+0:143+0], v[vgprValuA_X0_I0+32+0+0:vgprValuA_X0_I0+32+0+0+1], v[vgprValuB_X0_I0+12+0+0:vgprValuB_X0_I0+12+0+0+1], a[140:143]
/*  mfmaIndex:28  */
/* localReadsVacancy: latencyLeft 5 */
_buffer_load_b32 v[vgprG2LB+10], v[vgprGlobalReadOffsetB+10], s[sgprSrdB:sgprSrdB+3], 0, offen offset:0 // G -> Reg 0_0_10_0
v_mfma_f32_16x16x16f16 a[136+0:139+0], v[vgprValuA_X0_I0+28+0+0:vgprValuA_X0_I0+28+0+0+1], v[vgprValuB_X0_I0+12+0+0:vgprValuB_X0_I0+12+0+0+1], a[136:139]
/*  mfmaIndex:29  */
/* localReadsVacancy: latencyLeft 5 */
_buffer_load_b32 v[vgprG2LB+11], v[vgprGlobalReadOffsetB+11], s[sgprSrdB:sgprSrdB+3], 0, offen offset:0 // G -> Reg 0_0_11_0
v_mfma_f32_16x16x16f16 a[132+0:135+0], v[vgprValuA_X0_I0+24+0+0:vgprValuA_X0_I0+24+0+0+1], v[vgprValuB_X0_I0+12+0+0:vgprValuB_X0_I0+12+0+0+1], a[132:135]
/*  mfmaIndex:30  */
/* localReadsVacancy: latencyLeft 5 */
_buffer_load_b32 v[vgprG2LB+12], v[vgprGlobalReadOffsetB+12], s[sgprSrdB:sgprSrdB+3], 0, offen offset:0 // G -> Reg 0_0_12_0
v_mfma_f32_16x16x16f16 a[128+0:131+0], v[vgprValuA_X0_I0+20+0+0:vgprValuA_X0_I0+20+0+0+1], v[vgprValuB_X0_I0+12+0+0:vgprValuB_X0_I0+12+0+0+1], a[128:131]
/*  mfmaIndex:31  */
/* localReadsVacancy: latencyLeft 5 */
_buffer_load_b32 v[vgprG2LB+13], v[vgprGlobalReadOffsetB+13], s[sgprSrdB:sgprSrdB+3], 0, offen offset:0 // G -> Reg 0_0_13_0
v_mfma_f32_16x16x16f16 a[124+0:127+0], v[vgprValuA_X0_I0+16+0+0:vgprValuA_X0_I0+16+0+0+1], v[vgprValuB_X0_I0+12+0+0:vgprValuB_X0_I0+12+0+0+1], a[124:127]
/*  mfmaIndex:32  */
/* localReadsVacancy: latencyLeft 5 */
_buffer_load_b32 v[vgprG2LB+14], v[vgprGlobalReadOffsetB+14], s[sgprSrdB:sgprSrdB+3], 0, offen offset:0 // G -> Reg 0_0_14_0
v_mfma_f32_16x16x16f16 a[120+0:123+0], v[vgprValuA_X0_I0+12+0+0:vgprValuA_X0_I0+12+0+0+1], v[vgprValuB_X0_I0+12+0+0:vgprValuB_X0_I0+12+0+0+1], a[120:123]
/*  mfmaIndex:33  */
/* localReadsVacancy: latencyLeft 5 */
_buffer_load_b32 v[vgprG2LB+15], v[vgprGlobalReadOffsetB+15], s[sgprSrdB:sgprSrdB+3], 0, offen offset:0 // G -> Reg 0_0_15_0
v_mfma_f32_16x16x16f16 a[116+0:119+0], v[vgprValuA_X0_I0+8+0+0:vgprValuA_X0_I0+8+0+0+1], v[vgprValuB_X0_I0+12+0+0:vgprValuB_X0_I0+12+0+0+1], a[116:119]
/*  mfmaIndex:34  */
/* localReadsVacancy: latencyLeft 5 */
_buffer_load_b32 v[vgprG2LB+16], v[vgprGlobalReadOffsetB+16], s[sgprSrdB:sgprSrdB+3], 0, offen offset:0 // G -> Reg 0_0_16_0
v_mfma_f32_16x16x16f16 a[112+0:115+0], v[vgprValuA_X0_I0+4+0+0:vgprValuA_X0_I0+4+0+0+1], v[vgprValuB_X0_I0+12+0+0:vgprValuB_X0_I0+12+0+0+1], a[112:115]
/*  mfmaIndex:35  */
/* localReadsVacancy: latencyLeft 5 */
_buffer_load_b32 v[vgprG2LB+17], v[vgprGlobalReadOffsetB+17], s[sgprSrdB:sgprSrdB+3], 0, offen offset:0 // G -> Reg 0_0_17_0
v_mfma_f32_16x16x16f16 a[108+0:111+0], v[vgprValuA_X0_I0+0+0+0:vgprValuA_X0_I0+0+0+0+1], v[vgprValuB_X0_I0+12+0+0:vgprValuB_X0_I0+12+0+0+1], a[108:111]
/* numPrefetchIter=0 */
/* dataAtIterA=-1 numReadsIterA=1 skipReadsIterA=1 readsPerIterA=9 */
/* dataAtIterB=-1 numReadsIterB=1 skipReadsIterB=1 readsPerIterB=4 */


/* iter 1 */

/*  grEndMfmaIndex:49, lwStartMfmaIndex:74, lwEndMfmaIndex:123  */
/*  numMfmaForLR:17, barrierMfmaIndex:126 */
/*  mfmaIndex:36  */
/* localReadsVacancy: latencyLeft 5 */
_buffer_load_b32 v[vgprG2LB+18], v[vgprGlobalReadOffsetB+18], s[sgprSrdB:sgprSrdB+3], 0, offen offset:0 // G -> Reg 0_0_18_0
s_waitcnt lgkmcnt(13)                              // lgkmcnt=0 vmcnt=-1wait for prior local read local write old=0, new=13 newLW=0 newLR=13
v_mfma_f32_16x16x16f16 a[0+0:3+0], v[vgprValuA_X0_I0+0+2+0:vgprValuA_X0_I0+0+2+0+1], v[vgprValuB_X0_I0+0+2+0:vgprValuB_X0_I0+0+2+0+1], a[0:3]
/*  mfmaIndex:37  */
/* localReadsVacancy: latencyLeft 5 */
_buffer_load_b32 v[vgprG2LB+19], v[vgprGlobalReadOffsetB+19], s[sgprSrdB:sgprSrdB+3], 0, offen offset:0 // G -> Reg 0_0_19_0
v_mfma_f32_16x16x16f16 a[4+0:7+0], v[vgprValuA_X0_I0+4+2+0:vgprValuA_X0_I0+4+2+0+1], v[vgprValuB_X0_I0+0+2+0:vgprValuB_X0_I0+0+2+0+1], a[4:7]
/*  mfmaIndex:38  */
/* localReadsVacancy: latencyLeft 5 */
_buffer_load_b32 v[vgprG2LB+20], v[vgprGlobalReadOffsetB+20], s[sgprSrdB:sgprSrdB+3], 0, offen offset:0 // G -> Reg 0_0_20_0
v_mfma_f32_16x16x16f16 a[8+0:11+0], v[vgprValuA_X0_I0+8+2+0:vgprValuA_X0_I0+8+2+0+1], v[vgprValuB_X0_I0+0+2+0:vgprValuB_X0_I0+0+2+0+1], a[8:11]
/*  mfmaIndex:39  */
/* localReadsVacancy: latencyLeft 5 */
_buffer_load_b32 v[vgprG2LB+21], v[vgprGlobalReadOffsetB+21], s[sgprSrdB:sgprSrdB+3], 0, offen offset:0 // G -> Reg 0_0_21_0
v_mfma_f32_16x16x16f16 a[12+0:15+0], v[vgprValuA_X0_I0+12+2+0:vgprValuA_X0_I0+12+2+0+1], v[vgprValuB_X0_I0+0+2+0:vgprValuB_X0_I0+0+2+0+1], a[12:15]
/*  mfmaIndex:40  */
/* localReadsVacancy: latencyLeft 5 */
_buffer_load_b32 v[vgprG2LB+22], v[vgprGlobalReadOffsetB+22], s[sgprSrdB:sgprSrdB+3], 0, offen offset:0 // G -> Reg 0_0_22_0
v_mfma_f32_16x16x16f16 a[16+0:19+0], v[vgprValuA_X0_I0+16+2+0:vgprValuA_X0_I0+16+2+0+1], v[vgprValuB_X0_I0+0+2+0:vgprValuB_X0_I0+0+2+0+1], a[16:19]
/*  mfmaIndex:41  */
/* localReadsVacancy: latencyLeft 5 */
_buffer_load_b32 v[vgprG2LB+23], v[vgprGlobalReadOffsetB+23], s[sgprSrdB:sgprSrdB+3], 0, offen offset:0 // G -> Reg 0_0_23_0
v_mfma_f32_16x16x16f16 a[20+0:23+0], v[vgprValuA_X0_I0+20+2+0:vgprValuA_X0_I0+20+2+0+1], v[vgprValuB_X0_I0+0+2+0:vgprValuB_X0_I0+0+2+0+1], a[20:23]
/*  mfmaIndex:42  */
/* localReadsVacancy: latencyLeft 5 */
_buffer_load_b32 v[vgprG2LB+24], v[vgprGlobalReadOffsetB+24], s[sgprSrdB:sgprSrdB+3], 0, offen offset:0 // G -> Reg 0_0_24_0
v_mfma_f32_16x16x16f16 a[24+0:27+0], v[vgprValuA_X0_I0+24+2+0:vgprValuA_X0_I0+24+2+0+1], v[vgprValuB_X0_I0+0+2+0:vgprValuB_X0_I0+0+2+0+1], a[24:27]
/*  mfmaIndex:43  */
/* localReadsVacancy: latencyLeft 5 */
_buffer_load_b32 v[vgprG2LB+25], v[vgprGlobalReadOffsetB+25], s[sgprSrdB:sgprSrdB+3], 0, offen offset:0 // G -> Reg 0_0_25_0
v_mfma_f32_16x16x16f16 a[28+0:31+0], v[vgprValuA_X0_I0+28+2+0:vgprValuA_X0_I0+28+2+0+1], v[vgprValuB_X0_I0+0+2+0:vgprValuB_X0_I0+0+2+0+1], a[28:31]
/*  mfmaIndex:44  */
/* localReadsVacancy: latencyLeft 5 */
_buffer_load_b32 v[vgprG2LB+26], v[vgprGlobalReadOffsetB+26], s[sgprSrdB:sgprSrdB+3], 0, offen offset:0 // G -> Reg 0_0_26_0
v_mfma_f32_16x16x16f16 a[32+0:35+0], v[vgprValuA_X0_I0+32+2+0:vgprValuA_X0_I0+32+2+0+1], v[vgprValuB_X0_I0+0+2+0:vgprValuB_X0_I0+0+2+0+1], a[32:35]
/*  mfmaIndex:45  */
/* localReadsVacancy: latencyLeft 5 */
_buffer_load_b32 v[vgprG2LB+27], v[vgprGlobalReadOffsetB+27], s[sgprSrdB:sgprSrdB+3], 0, offen offset:0 // G -> Reg 0_0_27_0
v_mfma_f32_16x16x16f16 a[68+0:71+0], v[vgprValuA_X0_I0+32+2+0:vgprValuA_X0_I0+32+2+0+1], v[vgprValuB_X0_I0+4+2+0:vgprValuB_X0_I0+4+2+0+1], a[68:71]
/*  mfmaIndex:46  */
/* localReadsVacancy: latencyLeft 5 */
_buffer_load_b32 v[vgprG2LB+28], v[vgprGlobalReadOffsetB+28], s[sgprSrdB:sgprSrdB+3], 0, offen offset:0 // G -> Reg 0_0_28_0
v_mfma_f32_16x16x16f16 a[64+0:67+0], v[vgprValuA_X0_I0+28+2+0:vgprValuA_X0_I0+28+2+0+1], v[vgprValuB_X0_I0+4+2+0:vgprValuB_X0_I0+4+2+0+1], a[64:67]
/*  mfmaIndex:47  */
/* localReadsVacancy: latencyLeft 5 */
_buffer_load_b32 v[vgprG2LB+29], v[vgprGlobalReadOffsetB+29], s[sgprSrdB:sgprSrdB+3], 0, offen offset:0 // G -> Reg 0_0_29_0
v_mfma_f32_16x16x16f16 a[60+0:63+0], v[vgprValuA_X0_I0+24+2+0:vgprValuA_X0_I0+24+2+0+1], v[vgprValuB_X0_I0+4+2+0:vgprValuB_X0_I0+4+2+0+1], a[60:63]
/*  mfmaIndex:48  */
/* localReadsVacancy: latencyLeft 5 */
_buffer_load_b32 v[vgprG2LB+30], v[vgprGlobalReadOffsetB+30], s[sgprSrdB:sgprSrdB+3], 0, offen offset:0 // G -> Reg 0_0_30_0
v_mfma_f32_16x16x16f16 a[56+0:59+0], v[vgprValuA_X0_I0+20+2+0:vgprValuA_X0_I0+20+2+0+1], v[vgprValuB_X0_I0+4+2+0:vgprValuB_X0_I0+4+2+0+1], a[56:59]
/*  mfmaIndex:49  */
/* localReadsVacancy: latencyLeft 5 */
_buffer_load_b32 v[vgprG2LB+31], v[vgprGlobalReadOffsetB+31], s[sgprSrdB:sgprSrdB+3], 0, offen offset:0 // G -> Reg 0_0_31_0
v_mfma_f32_16x16x16f16 a[52+0:55+0], v[vgprValuA_X0_I0+16+2+0:vgprValuA_X0_I0+16+2+0+1], v[vgprValuB_X0_I0+4+2+0:vgprValuB_X0_I0+4+2+0+1], a[52:55]
/*  mfmaIndex:50  */
/* localReadsVacancy: latencyLeft 5 */

/* global read inc A loopL */
s_cmp_eq_u32 s[sgprLoopCounterL], s[sgprStaggerUIter] // Is this the wrapIter?
s_cselect_b32 s56, s[sgprWrapUA+0], s[sgprGlobalReadIncsA+0] // incLower <- ?
s_cselect_b32 s57, s[sgprWrapUA+1], 0              // incUpper <- ?
v_mfma_f32_16x16x16f16 a[48+0:51+0], v[vgprValuA_X0_I0+12+2+0:vgprValuA_X0_I0+12+2+0+1], v[vgprValuB_X0_I0+4+2+0:vgprValuB_X0_I0+4+2+0+1], a[48:51]
/*  mfmaIndex:51  */
/* localReadsVacancy: latencyLeft 5 */
s_add_u32 s[sgprSrdA+0], s[sgprSrdA+0], s56        // gra SRD += inc(lower)
s_addc_u32  s[sgprSrdA+1], s[sgprSrdA+1], s57      // gra SRD += inc(upper)
s_sub_u32 s[sgprShadowLimitA+0], s[sgprShadowLimitA+0], s56 // limit -= inc)
v_mfma_f32_16x16x16f16 a[44+0:47+0], v[vgprValuA_X0_I0+8+2+0:vgprValuA_X0_I0+8+2+0+1], v[vgprValuB_X0_I0+4+2+0:vgprValuB_X0_I0+4+2+0+1], a[44:47]
/*  mfmaIndex:52  */
/* localReadsVacancy: latencyLeft 5 */
s_subb_u32 s[sgprShadowLimitA+1], s[sgprShadowLimitA+1], s57 // limit -= inc)
s_cmp_eq_u32 s[sgprShadowLimitA+1], 0              // are we within 2^32?
s_cselect_b32 s[sgprSrdA+2], s[sgprShadowLimitA+0], BufferLimitA // Move shadow to real if we are within 2^32
v_mfma_f32_16x16x16f16 a[40+0:43+0], v[vgprValuA_X0_I0+4+2+0:vgprValuA_X0_I0+4+2+0+1], v[vgprValuB_X0_I0+4+2+0:vgprValuB_X0_I0+4+2+0+1], a[40:43]
/*  mfmaIndex:53  */
/* localReadsVacancy: latencyLeft 5 */

/* global read inc B loopL */
s_cmp_eq_u32 s[sgprLoopCounterL], s[sgprStaggerUIter] // Is this the wrapIter?
s_cselect_b32 s56, s[sgprWrapUB+0], s[sgprGlobalReadIncsB+0] // incLower <- ?
s_cselect_b32 s57, s[sgprWrapUB+1], 0              // incUpper <- ?
v_mfma_f32_16x16x16f16 a[36+0:39+0], v[vgprValuA_X0_I0+0+2+0:vgprValuA_X0_I0+0+2+0+1], v[vgprValuB_X0_I0+4+2+0:vgprValuB_X0_I0+4+2+0+1], a[36:39]
/*  mfmaIndex:54  */
/* localReadsVacancy: latencyLeft 5 */
s_add_u32 s[sgprSrdB+0], s[sgprSrdB+0], s56        // gra SRD += inc(lower)
s_addc_u32  s[sgprSrdB+1], s[sgprSrdB+1], s57      // gra SRD += inc(upper)
s_sub_u32 s[sgprShadowLimitB+0], s[sgprShadowLimitB+0], s56 // limit -= inc)
v_mfma_f32_16x16x16f16 a[72+0:75+0], v[vgprValuA_X0_I0+0+2+0:vgprValuA_X0_I0+0+2+0+1], v[vgprValuB_X0_I0+8+2+0:vgprValuB_X0_I0+8+2+0+1], a[72:75]
/*  mfmaIndex:55  */
/* localReadsVacancy: latencyLeft 5 */
s_subb_u32 s[sgprShadowLimitB+1], s[sgprShadowLimitB+1], s57 // limit -= inc)
s_cmp_eq_u32 s[sgprShadowLimitB+1], 0              // are we within 2^32?
s_cselect_b32 s[sgprSrdB+2], s[sgprShadowLimitB+0], BufferLimitB // Move shadow to real if we are within 2^32
v_mfma_f32_16x16x16f16 a[76+0:79+0], v[vgprValuA_X0_I0+4+2+0:vgprValuA_X0_I0+4+2+0+1], v[vgprValuB_X0_I0+8+2+0:vgprValuB_X0_I0+8+2+0+1], a[76:79]
/*  mfmaIndex:56  */
/* localReadsVacancy: latencyLeft 5 */
v_mfma_f32_16x16x16f16 a[80+0:83+0], v[vgprValuA_X0_I0+8+2+0:vgprValuA_X0_I0+8+2+0+1], v[vgprValuB_X0_I0+8+2+0:vgprValuB_X0_I0+8+2+0+1], a[80:83]
/*  mfmaIndex:57  */
/* localReadsVacancy: latencyLeft 5 */
	;; [unrolled: 3-line block ×16, first 2 shown]
v_mfma_f32_16x16x16f16 a[108+0:111+0], v[vgprValuA_X0_I0+0+2+0:vgprValuA_X0_I0+0+2+0+1], v[vgprValuB_X0_I0+12+2+0:vgprValuB_X0_I0+12+2+0+1], a[108:111]
/* numPrefetchIter=0 */
/* dataAtIterA=-1 numReadsIterA=1 skipReadsIterA=1 readsPerIterA=9 */
/* dataAtIterB=-1 numReadsIterB=1 skipReadsIterB=1 readsPerIterB=4 */


/* iter 2 (reset local read pointers iteration)  (swap local read pointers iteration)  */

/*  grEndMfmaIndex:49, lwStartMfmaIndex:74, lwEndMfmaIndex:123  */
/*  numMfmaForLR:17, barrierMfmaIndex:126 */
/*  mfmaIndex:72  */
/* localReadsVacancy: latencyLeft 5 */
s_waitcnt lgkmcnt(0)                               // lgkmcnt=0 vmcnt=-1wait for prior local read local write old=0, new=0 newLW=0 newLR=0
v_mfma_f32_16x16x16f16 a[0+0:3+0], v[vgprValuA_X2_I0+0+0+0:vgprValuA_X2_I0+0+0+0+1], v[vgprValuB_X2_I0+0+0+0:vgprValuB_X2_I0+0+0+0+1], a[0:3]
/*  mfmaIndex:73  */
/* localReadsVacancy: latencyLeft 5 */
/* 1 LDS buffer: read-sync-write */
s_waitcnt lgkmcnt(0)                               // 
s_barrier                                          // 
v_mfma_f32_16x16x16f16 a[4+0:7+0], v[vgprValuA_X2_I0+4+0+0:vgprValuA_X2_I0+4+0+0+1], v[vgprValuB_X2_I0+0+0+0:vgprValuB_X2_I0+0+0+0+1], a[4:7]
/*  mfmaIndex:74  */
/* localReadsVacancy: latencyLeft 1 */
/* sched write - iter 2 writesPerItem=1 */
s_waitcnt vmcnt(0)                                 // lgkmcnt=-1 vmcnt=0wait for global read before writing to local
_ds_store_b32 v[vgprLocalWriteAddrA], v[vgprG2LA+0] offset:0 // lwoA_0_0_0_0 = (0*LSCA)*(MT0I+PAD) + (0*LSPA) = 0
v_mfma_f32_16x16x16f16 a[8+0:11+0], v[vgprValuA_X2_I0+8+0+0:vgprValuA_X2_I0+8+0+0+1], v[vgprValuB_X2_I0+0+0+0:vgprValuB_X2_I0+0+0+0+1], a[8:11]
/*  mfmaIndex:75  */
/* sched write - iter 2 writesPerItem=1 */
s_waitcnt vmcnt(0)                                 // lgkmcnt=-1 vmcnt=0wait for global read before writing to local
_ds_store_b32 v[vgprLocalWriteAddrA], v[vgprG2LA+1] offset:320 // lwoA_0_0_1_0 = (0*LSCA)*(MT0I+PAD) + (1*LSPA) = 320
v_mfma_f32_16x16x16f16 a[12+0:15+0], v[vgprValuA_X2_I0+12+0+0:vgprValuA_X2_I0+12+0+0+1], v[vgprValuB_X2_I0+0+0+0:vgprValuB_X2_I0+0+0+0+1], a[12:15]
/*  mfmaIndex:76  */
/* sched write - iter 2 writesPerItem=1 */
s_waitcnt vmcnt(0)                                 // lgkmcnt=-1 vmcnt=0wait for global read before writing to local
_ds_store_b32 v[vgprLocalWriteAddrA], v[vgprG2LA+2] offset:640 // lwoA_0_0_2_0 = (0*LSCA)*(MT0I+PAD) + (2*LSPA) = 640
v_mfma_f32_16x16x16f16 a[16+0:19+0], v[vgprValuA_X2_I0+16+0+0:vgprValuA_X2_I0+16+0+0+1], v[vgprValuB_X2_I0+0+0+0:vgprValuB_X2_I0+0+0+0+1], a[16:19]
/*  mfmaIndex:77  */
/* sched write - iter 2 writesPerItem=1 */
s_waitcnt vmcnt(0)                                 // lgkmcnt=-1 vmcnt=0wait for global read before writing to local
_ds_store_b32 v[vgprLocalWriteAddrA], v[vgprG2LA+3] offset:960 // lwoA_0_0_3_0 = (0*LSCA)*(MT0I+PAD) + (3*LSPA) = 960
v_mfma_f32_16x16x16f16 a[20+0:23+0], v[vgprValuA_X2_I0+20+0+0:vgprValuA_X2_I0+20+0+0+1], v[vgprValuB_X2_I0+0+0+0:vgprValuB_X2_I0+0+0+0+1], a[20:23]
/*  mfmaIndex:78  */
/* sched write - iter 2 writesPerItem=1 */
s_waitcnt vmcnt(0)                                 // lgkmcnt=-1 vmcnt=0wait for global read before writing to local
_ds_store_b32 v[vgprLocalWriteAddrA], v[vgprG2LA+4] offset:1280 // lwoA_0_0_4_0 = (0*LSCA)*(MT0I+PAD) + (4*LSPA) = 1280
v_mfma_f32_16x16x16f16 a[24+0:27+0], v[vgprValuA_X2_I0+24+0+0:vgprValuA_X2_I0+24+0+0+1], v[vgprValuB_X2_I0+0+0+0:vgprValuB_X2_I0+0+0+0+1], a[24:27]
/*  mfmaIndex:79  */
/* sched write - iter 2 writesPerItem=1 */
s_waitcnt vmcnt(0)                                 // lgkmcnt=-1 vmcnt=0wait for global read before writing to local
_ds_store_b32 v[vgprLocalWriteAddrA], v[vgprG2LA+5] offset:1600 // lwoA_0_0_5_0 = (0*LSCA)*(MT0I+PAD) + (5*LSPA) = 1600
v_mfma_f32_16x16x16f16 a[28+0:31+0], v[vgprValuA_X2_I0+28+0+0:vgprValuA_X2_I0+28+0+0+1], v[vgprValuB_X2_I0+0+0+0:vgprValuB_X2_I0+0+0+0+1], a[28:31]
/*  mfmaIndex:80  */
/* sched write - iter 2 writesPerItem=1 */
s_waitcnt vmcnt(0)                                 // lgkmcnt=-1 vmcnt=0wait for global read before writing to local
_ds_store_b32 v[vgprLocalWriteAddrA], v[vgprG2LA+6] offset:1920 // lwoA_0_0_6_0 = (0*LSCA)*(MT0I+PAD) + (6*LSPA) = 1920
v_mfma_f32_16x16x16f16 a[32+0:35+0], v[vgprValuA_X2_I0+32+0+0:vgprValuA_X2_I0+32+0+0+1], v[vgprValuB_X2_I0+0+0+0:vgprValuB_X2_I0+0+0+0+1], a[32:35]
/*  mfmaIndex:81  */
/* sched write - iter 2 writesPerItem=1 */
s_waitcnt vmcnt(0)                                 // lgkmcnt=-1 vmcnt=0wait for global read before writing to local
_ds_store_b32 v[vgprLocalWriteAddrA], v[vgprG2LA+7] offset:2240 // lwoA_0_0_7_0 = (0*LSCA)*(MT0I+PAD) + (7*LSPA) = 2240
v_mfma_f32_16x16x16f16 a[68+0:71+0], v[vgprValuA_X2_I0+32+0+0:vgprValuA_X2_I0+32+0+0+1], v[vgprValuB_X2_I0+4+0+0:vgprValuB_X2_I0+4+0+0+1], a[68:71]
/*  mfmaIndex:82  */
/* sched write - iter 2 writesPerItem=1 */
s_waitcnt vmcnt(0)                                 // lgkmcnt=-1 vmcnt=0wait for global read before writing to local
_ds_store_b32 v[vgprLocalWriteAddrA], v[vgprG2LA+8] offset:2560 // lwoA_0_0_8_0 = (0*LSCA)*(MT0I+PAD) + (8*LSPA) = 2560
v_mfma_f32_16x16x16f16 a[64+0:67+0], v[vgprValuA_X2_I0+28+0+0:vgprValuA_X2_I0+28+0+0+1], v[vgprValuB_X2_I0+4+0+0:vgprValuB_X2_I0+4+0+0+1], a[64:67]
/*  mfmaIndex:83  */
/* sched write - iter 2 writesPerItem=1 */
s_waitcnt vmcnt(0)                                 // lgkmcnt=-1 vmcnt=0wait for global read before writing to local
_ds_store_b32 v[vgprLocalWriteAddrA], v[vgprG2LA+9] offset:2880 // lwoA_0_0_9_0 = (0*LSCA)*(MT0I+PAD) + (9*LSPA) = 2880
v_mfma_f32_16x16x16f16 a[60+0:63+0], v[vgprValuA_X2_I0+24+0+0:vgprValuA_X2_I0+24+0+0+1], v[vgprValuB_X2_I0+4+0+0:vgprValuB_X2_I0+4+0+0+1], a[60:63]
/*  mfmaIndex:84  */
/* sched write - iter 2 writesPerItem=1 */
s_waitcnt vmcnt(0)                                 // lgkmcnt=-1 vmcnt=0wait for global read before writing to local
_ds_store_b32 v[vgprLocalWriteAddrA], v[vgprG2LA+10] offset:3200 // lwoA_0_0_10_0 = (0*LSCA)*(MT0I+PAD) + (10*LSPA) = 3200
v_mfma_f32_16x16x16f16 a[56+0:59+0], v[vgprValuA_X2_I0+20+0+0:vgprValuA_X2_I0+20+0+0+1], v[vgprValuB_X2_I0+4+0+0:vgprValuB_X2_I0+4+0+0+1], a[56:59]
/*  mfmaIndex:85  */
/* sched write - iter 2 writesPerItem=1 */
s_waitcnt vmcnt(0)                                 // lgkmcnt=-1 vmcnt=0wait for global read before writing to local
_ds_store_b32 v[vgprLocalWriteAddrA], v[vgprG2LA+11] offset:3520 // lwoA_0_0_11_0 = (0*LSCA)*(MT0I+PAD) + (11*LSPA) = 3520
v_mfma_f32_16x16x16f16 a[52+0:55+0], v[vgprValuA_X2_I0+16+0+0:vgprValuA_X2_I0+16+0+0+1], v[vgprValuB_X2_I0+4+0+0:vgprValuB_X2_I0+4+0+0+1], a[52:55]
/*  mfmaIndex:86  */
/* sched write - iter 2 writesPerItem=1 */
s_waitcnt vmcnt(0)                                 // lgkmcnt=-1 vmcnt=0wait for global read before writing to local
_ds_store_b32 v[vgprLocalWriteAddrA], v[vgprG2LA+12] offset:3840 // lwoA_0_0_12_0 = (0*LSCA)*(MT0I+PAD) + (12*LSPA) = 3840
v_mfma_f32_16x16x16f16 a[48+0:51+0], v[vgprValuA_X2_I0+12+0+0:vgprValuA_X2_I0+12+0+0+1], v[vgprValuB_X2_I0+4+0+0:vgprValuB_X2_I0+4+0+0+1], a[48:51]
/*  mfmaIndex:87  */
/* sched write - iter 2 writesPerItem=1 */
s_waitcnt vmcnt(0)                                 // lgkmcnt=-1 vmcnt=0wait for global read before writing to local
_ds_store_b32 v[vgprLocalWriteAddrA], v[vgprG2LA+13] offset:4160 // lwoA_0_0_13_0 = (0*LSCA)*(MT0I+PAD) + (13*LSPA) = 4160
v_mfma_f32_16x16x16f16 a[44+0:47+0], v[vgprValuA_X2_I0+8+0+0:vgprValuA_X2_I0+8+0+0+1], v[vgprValuB_X2_I0+4+0+0:vgprValuB_X2_I0+4+0+0+1], a[44:47]
/*  mfmaIndex:88  */
/* sched write - iter 2 writesPerItem=1 */
s_waitcnt vmcnt(0)                                 // lgkmcnt=-1 vmcnt=0wait for global read before writing to local
_ds_store_b32 v[vgprLocalWriteAddrA], v[vgprG2LA+14] offset:4480 // lwoA_0_0_14_0 = (0*LSCA)*(MT0I+PAD) + (14*LSPA) = 4480
v_mfma_f32_16x16x16f16 a[40+0:43+0], v[vgprValuA_X2_I0+4+0+0:vgprValuA_X2_I0+4+0+0+1], v[vgprValuB_X2_I0+4+0+0:vgprValuB_X2_I0+4+0+0+1], a[40:43]
/*  mfmaIndex:89  */
/* sched write - iter 2 writesPerItem=1 */
s_waitcnt vmcnt(0)                                 // lgkmcnt=-1 vmcnt=0wait for global read before writing to local
_ds_store_b32 v[vgprLocalWriteAddrA], v[vgprG2LA+15] offset:4800 // lwoA_0_0_15_0 = (0*LSCA)*(MT0I+PAD) + (15*LSPA) = 4800
v_mfma_f32_16x16x16f16 a[36+0:39+0], v[vgprValuA_X2_I0+0+0+0:vgprValuA_X2_I0+0+0+0+1], v[vgprValuB_X2_I0+4+0+0:vgprValuB_X2_I0+4+0+0+1], a[36:39]
/*  mfmaIndex:90  */
/* sched write - iter 2 writesPerItem=1 */
s_waitcnt vmcnt(0)                                 // lgkmcnt=-1 vmcnt=0wait for global read before writing to local
_ds_store_b32 v[vgprLocalWriteAddrA], v[vgprG2LA+16] offset:5120 // lwoA_0_0_16_0 = (0*LSCA)*(MT0I+PAD) + (16*LSPA) = 5120
v_mfma_f32_16x16x16f16 a[72+0:75+0], v[vgprValuA_X2_I0+0+0+0:vgprValuA_X2_I0+0+0+0+1], v[vgprValuB_X2_I0+8+0+0:vgprValuB_X2_I0+8+0+0+1], a[72:75]
/*  mfmaIndex:91  */
/* sched write - iter 2 writesPerItem=1 */
s_waitcnt vmcnt(0)                                 // lgkmcnt=-1 vmcnt=0wait for global read before writing to local
_ds_store_b32 v[vgprLocalWriteAddrA], v[vgprG2LA+17] offset:5440 // lwoA_0_0_17_0 = (0*LSCA)*(MT0I+PAD) + (17*LSPA) = 5440
v_mfma_f32_16x16x16f16 a[76+0:79+0], v[vgprValuA_X2_I0+4+0+0:vgprValuA_X2_I0+4+0+0+1], v[vgprValuB_X2_I0+8+0+0:vgprValuB_X2_I0+8+0+0+1], a[76:79]
/*  mfmaIndex:92  */
/* sched write - iter 2 writesPerItem=1 */
s_waitcnt vmcnt(0)                                 // lgkmcnt=-1 vmcnt=0wait for global read before writing to local
_ds_store_b32 v[vgprLocalWriteAddrB], v[vgprG2LB+0] offset:0 // lwoB_0_0_0_0 = (0*LSCB)*(MT1J+PAD) + (0*LSPB) = 0
v_mfma_f32_16x16x16f16 a[80+0:83+0], v[vgprValuA_X2_I0+8+0+0:vgprValuA_X2_I0+8+0+0+1], v[vgprValuB_X2_I0+8+0+0:vgprValuB_X2_I0+8+0+0+1], a[80:83]
/*  mfmaIndex:93  */
/* sched write - iter 2 writesPerItem=1 */
s_waitcnt vmcnt(0)                                 // lgkmcnt=-1 vmcnt=0wait for global read before writing to local
_ds_store_b32 v[vgprLocalWriteAddrB], v[vgprG2LB+1] offset:320 // lwoB_0_0_1_0 = (0*LSCB)*(MT1J+PAD) + (1*LSPB) = 320
v_mfma_f32_16x16x16f16 a[84+0:87+0], v[vgprValuA_X2_I0+12+0+0:vgprValuA_X2_I0+12+0+0+1], v[vgprValuB_X2_I0+8+0+0:vgprValuB_X2_I0+8+0+0+1], a[84:87]
/*  mfmaIndex:94  */
/* sched write - iter 2 writesPerItem=1 */
s_waitcnt vmcnt(0)                                 // lgkmcnt=-1 vmcnt=0wait for global read before writing to local
_ds_store_b32 v[vgprLocalWriteAddrB], v[vgprG2LB+2] offset:640 // lwoB_0_0_2_0 = (0*LSCB)*(MT1J+PAD) + (2*LSPB) = 640
v_mfma_f32_16x16x16f16 a[88+0:91+0], v[vgprValuA_X2_I0+16+0+0:vgprValuA_X2_I0+16+0+0+1], v[vgprValuB_X2_I0+8+0+0:vgprValuB_X2_I0+8+0+0+1], a[88:91]
/*  mfmaIndex:95  */
/* sched write - iter 2 writesPerItem=1 */
s_waitcnt vmcnt(0)                                 // lgkmcnt=-1 vmcnt=0wait for global read before writing to local
_ds_store_b32 v[vgprLocalWriteAddrB], v[vgprG2LB+3] offset:960 // lwoB_0_0_3_0 = (0*LSCB)*(MT1J+PAD) + (3*LSPB) = 960
v_mfma_f32_16x16x16f16 a[92+0:95+0], v[vgprValuA_X2_I0+20+0+0:vgprValuA_X2_I0+20+0+0+1], v[vgprValuB_X2_I0+8+0+0:vgprValuB_X2_I0+8+0+0+1], a[92:95]
/*  mfmaIndex:96  */
/* sched write - iter 2 writesPerItem=1 */
s_waitcnt vmcnt(0)                                 // lgkmcnt=-1 vmcnt=0wait for global read before writing to local
_ds_store_b32 v[vgprLocalWriteAddrB], v[vgprG2LB+4] offset:1280 // lwoB_0_0_4_0 = (0*LSCB)*(MT1J+PAD) + (4*LSPB) = 1280
v_mfma_f32_16x16x16f16 a[96+0:99+0], v[vgprValuA_X2_I0+24+0+0:vgprValuA_X2_I0+24+0+0+1], v[vgprValuB_X2_I0+8+0+0:vgprValuB_X2_I0+8+0+0+1], a[96:99]
/*  mfmaIndex:97  */
/* sched write - iter 2 writesPerItem=1 */
s_waitcnt vmcnt(0)                                 // lgkmcnt=-1 vmcnt=0wait for global read before writing to local
_ds_store_b32 v[vgprLocalWriteAddrB], v[vgprG2LB+5] offset:1600 // lwoB_0_0_5_0 = (0*LSCB)*(MT1J+PAD) + (5*LSPB) = 1600
v_mfma_f32_16x16x16f16 a[100+0:103+0], v[vgprValuA_X2_I0+28+0+0:vgprValuA_X2_I0+28+0+0+1], v[vgprValuB_X2_I0+8+0+0:vgprValuB_X2_I0+8+0+0+1], a[100:103]
/*  mfmaIndex:98  */
/* sched write - iter 2 writesPerItem=1 */
s_waitcnt vmcnt(0)                                 // lgkmcnt=-1 vmcnt=0wait for global read before writing to local
_ds_store_b32 v[vgprLocalWriteAddrB], v[vgprG2LB+6] offset:1920 // lwoB_0_0_6_0 = (0*LSCB)*(MT1J+PAD) + (6*LSPB) = 1920
v_mfma_f32_16x16x16f16 a[104+0:107+0], v[vgprValuA_X2_I0+32+0+0:vgprValuA_X2_I0+32+0+0+1], v[vgprValuB_X2_I0+8+0+0:vgprValuB_X2_I0+8+0+0+1], a[104:107]
/*  mfmaIndex:99  */
/* sched write - iter 2 writesPerItem=1 */
s_waitcnt vmcnt(0)                                 // lgkmcnt=-1 vmcnt=0wait for global read before writing to local
_ds_store_b32 v[vgprLocalWriteAddrB], v[vgprG2LB+7] offset:2240 // lwoB_0_0_7_0 = (0*LSCB)*(MT1J+PAD) + (7*LSPB) = 2240
v_mfma_f32_16x16x16f16 a[140+0:143+0], v[vgprValuA_X2_I0+32+0+0:vgprValuA_X2_I0+32+0+0+1], v[vgprValuB_X2_I0+12+0+0:vgprValuB_X2_I0+12+0+0+1], a[140:143]
/*  mfmaIndex:100  */
/* sched write - iter 2 writesPerItem=1 */
s_waitcnt vmcnt(0)                                 // lgkmcnt=-1 vmcnt=0wait for global read before writing to local
_ds_store_b32 v[vgprLocalWriteAddrB], v[vgprG2LB+8] offset:2560 // lwoB_0_0_8_0 = (0*LSCB)*(MT1J+PAD) + (8*LSPB) = 2560
v_mfma_f32_16x16x16f16 a[136+0:139+0], v[vgprValuA_X2_I0+28+0+0:vgprValuA_X2_I0+28+0+0+1], v[vgprValuB_X2_I0+12+0+0:vgprValuB_X2_I0+12+0+0+1], a[136:139]
/*  mfmaIndex:101  */
/* sched write - iter 2 writesPerItem=1 */
s_waitcnt vmcnt(0)                                 // lgkmcnt=-1 vmcnt=0wait for global read before writing to local
_ds_store_b32 v[vgprLocalWriteAddrB], v[vgprG2LB+9] offset:2880 // lwoB_0_0_9_0 = (0*LSCB)*(MT1J+PAD) + (9*LSPB) = 2880
v_mfma_f32_16x16x16f16 a[132+0:135+0], v[vgprValuA_X2_I0+24+0+0:vgprValuA_X2_I0+24+0+0+1], v[vgprValuB_X2_I0+12+0+0:vgprValuB_X2_I0+12+0+0+1], a[132:135]
/*  mfmaIndex:102  */
/* sched write - iter 2 writesPerItem=1 */
s_waitcnt vmcnt(0)                                 // lgkmcnt=-1 vmcnt=0wait for global read before writing to local
_ds_store_b32 v[vgprLocalWriteAddrB], v[vgprG2LB+10] offset:3200 // lwoB_0_0_10_0 = (0*LSCB)*(MT1J+PAD) + (10*LSPB) = 3200
v_mfma_f32_16x16x16f16 a[128+0:131+0], v[vgprValuA_X2_I0+20+0+0:vgprValuA_X2_I0+20+0+0+1], v[vgprValuB_X2_I0+12+0+0:vgprValuB_X2_I0+12+0+0+1], a[128:131]
/*  mfmaIndex:103  */
/* sched write - iter 2 writesPerItem=1 */
s_waitcnt vmcnt(0)                                 // lgkmcnt=-1 vmcnt=0wait for global read before writing to local
_ds_store_b32 v[vgprLocalWriteAddrB], v[vgprG2LB+11] offset:3520 // lwoB_0_0_11_0 = (0*LSCB)*(MT1J+PAD) + (11*LSPB) = 3520
v_mfma_f32_16x16x16f16 a[124+0:127+0], v[vgprValuA_X2_I0+16+0+0:vgprValuA_X2_I0+16+0+0+1], v[vgprValuB_X2_I0+12+0+0:vgprValuB_X2_I0+12+0+0+1], a[124:127]
/*  mfmaIndex:104  */
/* sched write - iter 2 writesPerItem=1 */
s_waitcnt vmcnt(0)                                 // lgkmcnt=-1 vmcnt=0wait for global read before writing to local
_ds_store_b32 v[vgprLocalWriteAddrB], v[vgprG2LB+12] offset:3840 // lwoB_0_0_12_0 = (0*LSCB)*(MT1J+PAD) + (12*LSPB) = 3840
v_mfma_f32_16x16x16f16 a[120+0:123+0], v[vgprValuA_X2_I0+12+0+0:vgprValuA_X2_I0+12+0+0+1], v[vgprValuB_X2_I0+12+0+0:vgprValuB_X2_I0+12+0+0+1], a[120:123]
/*  mfmaIndex:105  */
/* sched write - iter 2 writesPerItem=1 */
s_waitcnt vmcnt(0)                                 // lgkmcnt=-1 vmcnt=0wait for global read before writing to local
_ds_store_b32 v[vgprLocalWriteAddrB], v[vgprG2LB+13] offset:4160 // lwoB_0_0_13_0 = (0*LSCB)*(MT1J+PAD) + (13*LSPB) = 4160
v_mfma_f32_16x16x16f16 a[116+0:119+0], v[vgprValuA_X2_I0+8+0+0:vgprValuA_X2_I0+8+0+0+1], v[vgprValuB_X2_I0+12+0+0:vgprValuB_X2_I0+12+0+0+1], a[116:119]
/*  mfmaIndex:106  */
/* sched write - iter 2 writesPerItem=1 */
s_waitcnt vmcnt(0)                                 // lgkmcnt=-1 vmcnt=0wait for global read before writing to local
_ds_store_b32 v[vgprLocalWriteAddrB], v[vgprG2LB+14] offset:4480 // lwoB_0_0_14_0 = (0*LSCB)*(MT1J+PAD) + (14*LSPB) = 4480
v_mfma_f32_16x16x16f16 a[112+0:115+0], v[vgprValuA_X2_I0+4+0+0:vgprValuA_X2_I0+4+0+0+1], v[vgprValuB_X2_I0+12+0+0:vgprValuB_X2_I0+12+0+0+1], a[112:115]
/*  mfmaIndex:107  */
/* sched write - iter 2 writesPerItem=1 */
s_waitcnt vmcnt(0)                                 // lgkmcnt=-1 vmcnt=0wait for global read before writing to local
_ds_store_b32 v[vgprLocalWriteAddrB], v[vgprG2LB+15] offset:4800 // lwoB_0_0_15_0 = (0*LSCB)*(MT1J+PAD) + (15*LSPB) = 4800

/* local read swap offsets a */

/* local read swap offsets b */

/* local read init pointers a */

/* localReadInitPointers */

/* local read init pointers b */

/* localReadInitPointers */
v_mfma_f32_16x16x16f16 a[108+0:111+0], v[vgprValuA_X2_I0+0+0+0:vgprValuA_X2_I0+0+0+0+1], v[vgprValuB_X2_I0+12+0+0:vgprValuB_X2_I0+12+0+0+1], a[108:111]
/* numPrefetchIter=0 */
/* dataAtIterA=0 numReadsIterA=1 skipReadsIterA=0 readsPerIterA=9 */
/* dataAtIterB=0 numReadsIterB=1 skipReadsIterB=0 readsPerIterB=4 */


/* iter 3 (swap and reset local write pointers iteration)  */

/*  grEndMfmaIndex:49, lwStartMfmaIndex:74, lwEndMfmaIndex:123  */
/*  numMfmaForLR:17, barrierMfmaIndex:126 */
/*  mfmaIndex:108  */
/* sched write - iter 3 writesPerItem=1 */
s_waitcnt vmcnt(0)                                 // lgkmcnt=-1 vmcnt=0wait for global read before writing to local
_ds_store_b32 v[vgprLocalWriteAddrB], v[vgprG2LB+16] offset:5120 // lwoB_0_0_16_0 = (0*LSCB)*(MT1J+PAD) + (16*LSPB) = 5120
v_mfma_f32_16x16x16f16 a[0+0:3+0], v[vgprValuA_X2_I0+0+2+0:vgprValuA_X2_I0+0+2+0+1], v[vgprValuB_X2_I0+0+2+0:vgprValuB_X2_I0+0+2+0+1], a[0:3]
/*  mfmaIndex:109  */
/* sched write - iter 3 writesPerItem=1 */
s_waitcnt vmcnt(0)                                 // lgkmcnt=-1 vmcnt=0wait for global read before writing to local
_ds_store_b32 v[vgprLocalWriteAddrB], v[vgprG2LB+17] offset:5440 // lwoB_0_0_17_0 = (0*LSCB)*(MT1J+PAD) + (17*LSPB) = 5440
v_mfma_f32_16x16x16f16 a[4+0:7+0], v[vgprValuA_X2_I0+4+2+0:vgprValuA_X2_I0+4+2+0+1], v[vgprValuB_X2_I0+0+2+0:vgprValuB_X2_I0+0+2+0+1], a[4:7]
/*  mfmaIndex:110  */
/* sched write - iter 3 writesPerItem=1 */
s_waitcnt vmcnt(0)                                 // lgkmcnt=-1 vmcnt=0wait for global read before writing to local
_ds_store_b32 v[vgprLocalWriteAddrB], v[vgprG2LB+18] offset:5760 // lwoB_0_0_18_0 = (0*LSCB)*(MT1J+PAD) + (18*LSPB) = 5760
v_mfma_f32_16x16x16f16 a[8+0:11+0], v[vgprValuA_X2_I0+8+2+0:vgprValuA_X2_I0+8+2+0+1], v[vgprValuB_X2_I0+0+2+0:vgprValuB_X2_I0+0+2+0+1], a[8:11]
/*  mfmaIndex:111  */
/* sched write - iter 3 writesPerItem=1 */
s_waitcnt vmcnt(0)                                 // lgkmcnt=-1 vmcnt=0wait for global read before writing to local
_ds_store_b32 v[vgprLocalWriteAddrB], v[vgprG2LB+19] offset:6080 // lwoB_0_0_19_0 = (0*LSCB)*(MT1J+PAD) + (19*LSPB) = 6080
v_mfma_f32_16x16x16f16 a[12+0:15+0], v[vgprValuA_X2_I0+12+2+0:vgprValuA_X2_I0+12+2+0+1], v[vgprValuB_X2_I0+0+2+0:vgprValuB_X2_I0+0+2+0+1], a[12:15]
/*  mfmaIndex:112  */
/* sched write - iter 3 writesPerItem=1 */
s_waitcnt vmcnt(0)                                 // lgkmcnt=-1 vmcnt=0wait for global read before writing to local
_ds_store_b32 v[vgprLocalWriteAddrB], v[vgprG2LB+20] offset:6400 // lwoB_0_0_20_0 = (0*LSCB)*(MT1J+PAD) + (20*LSPB) = 6400
v_mfma_f32_16x16x16f16 a[16+0:19+0], v[vgprValuA_X2_I0+16+2+0:vgprValuA_X2_I0+16+2+0+1], v[vgprValuB_X2_I0+0+2+0:vgprValuB_X2_I0+0+2+0+1], a[16:19]
/*  mfmaIndex:113  */
/* sched write - iter 3 writesPerItem=1 */
s_waitcnt vmcnt(0)                                 // lgkmcnt=-1 vmcnt=0wait for global read before writing to local
_ds_store_b32 v[vgprLocalWriteAddrB], v[vgprG2LB+21] offset:6720 // lwoB_0_0_21_0 = (0*LSCB)*(MT1J+PAD) + (21*LSPB) = 6720
v_mfma_f32_16x16x16f16 a[20+0:23+0], v[vgprValuA_X2_I0+20+2+0:vgprValuA_X2_I0+20+2+0+1], v[vgprValuB_X2_I0+0+2+0:vgprValuB_X2_I0+0+2+0+1], a[20:23]
/*  mfmaIndex:114  */
/* sched write - iter 3 writesPerItem=1 */
s_waitcnt vmcnt(0)                                 // lgkmcnt=-1 vmcnt=0wait for global read before writing to local
_ds_store_b32 v[vgprLocalWriteAddrB], v[vgprG2LB+22] offset:7040 // lwoB_0_0_22_0 = (0*LSCB)*(MT1J+PAD) + (22*LSPB) = 7040
v_mfma_f32_16x16x16f16 a[24+0:27+0], v[vgprValuA_X2_I0+24+2+0:vgprValuA_X2_I0+24+2+0+1], v[vgprValuB_X2_I0+0+2+0:vgprValuB_X2_I0+0+2+0+1], a[24:27]
/*  mfmaIndex:115  */
/* sched write - iter 3 writesPerItem=1 */
s_waitcnt vmcnt(0)                                 // lgkmcnt=-1 vmcnt=0wait for global read before writing to local
_ds_store_b32 v[vgprLocalWriteAddrB], v[vgprG2LB+23] offset:7360 // lwoB_0_0_23_0 = (0*LSCB)*(MT1J+PAD) + (23*LSPB) = 7360
v_mfma_f32_16x16x16f16 a[28+0:31+0], v[vgprValuA_X2_I0+28+2+0:vgprValuA_X2_I0+28+2+0+1], v[vgprValuB_X2_I0+0+2+0:vgprValuB_X2_I0+0+2+0+1], a[28:31]
/*  mfmaIndex:116  */
/* sched write - iter 3 writesPerItem=1 */
s_waitcnt vmcnt(0)                                 // lgkmcnt=-1 vmcnt=0wait for global read before writing to local
_ds_store_b32 v[vgprLocalWriteAddrB], v[vgprG2LB+24] offset:7680 // lwoB_0_0_24_0 = (0*LSCB)*(MT1J+PAD) + (24*LSPB) = 7680
v_mfma_f32_16x16x16f16 a[32+0:35+0], v[vgprValuA_X2_I0+32+2+0:vgprValuA_X2_I0+32+2+0+1], v[vgprValuB_X2_I0+0+2+0:vgprValuB_X2_I0+0+2+0+1], a[32:35]
/*  mfmaIndex:117  */
/* sched write - iter 3 writesPerItem=1 */
s_waitcnt vmcnt(0)                                 // lgkmcnt=-1 vmcnt=0wait for global read before writing to local
_ds_store_b32 v[vgprLocalWriteAddrB], v[vgprG2LB+25] offset:8000 // lwoB_0_0_25_0 = (0*LSCB)*(MT1J+PAD) + (25*LSPB) = 8000
v_mfma_f32_16x16x16f16 a[68+0:71+0], v[vgprValuA_X2_I0+32+2+0:vgprValuA_X2_I0+32+2+0+1], v[vgprValuB_X2_I0+4+2+0:vgprValuB_X2_I0+4+2+0+1], a[68:71]
/*  mfmaIndex:118  */
/* sched write - iter 3 writesPerItem=1 */
s_waitcnt vmcnt(0)                                 // lgkmcnt=-1 vmcnt=0wait for global read before writing to local
_ds_store_b32 v[vgprLocalWriteAddrB], v[vgprG2LB+26] offset:8320 // lwoB_0_0_26_0 = (0*LSCB)*(MT1J+PAD) + (26*LSPB) = 8320
v_mfma_f32_16x16x16f16 a[64+0:67+0], v[vgprValuA_X2_I0+28+2+0:vgprValuA_X2_I0+28+2+0+1], v[vgprValuB_X2_I0+4+2+0:vgprValuB_X2_I0+4+2+0+1], a[64:67]
/*  mfmaIndex:119  */
/* sched write - iter 3 writesPerItem=1 */
s_waitcnt vmcnt(0)                                 // lgkmcnt=-1 vmcnt=0wait for global read before writing to local
_ds_store_b32 v[vgprLocalWriteAddrB], v[vgprG2LB+27] offset:8640 // lwoB_0_0_27_0 = (0*LSCB)*(MT1J+PAD) + (27*LSPB) = 8640
v_mfma_f32_16x16x16f16 a[60+0:63+0], v[vgprValuA_X2_I0+24+2+0:vgprValuA_X2_I0+24+2+0+1], v[vgprValuB_X2_I0+4+2+0:vgprValuB_X2_I0+4+2+0+1], a[60:63]
/*  mfmaIndex:120  */
/* sched write - iter 3 writesPerItem=1 */
s_waitcnt vmcnt(0)                                 // lgkmcnt=-1 vmcnt=0wait for global read before writing to local
_ds_store_b32 v[vgprLocalWriteAddrB], v[vgprG2LB+28] offset:8960 // lwoB_0_0_28_0 = (0*LSCB)*(MT1J+PAD) + (28*LSPB) = 8960
v_mfma_f32_16x16x16f16 a[56+0:59+0], v[vgprValuA_X2_I0+20+2+0:vgprValuA_X2_I0+20+2+0+1], v[vgprValuB_X2_I0+4+2+0:vgprValuB_X2_I0+4+2+0+1], a[56:59]
/*  mfmaIndex:121  */
/* sched write - iter 3 writesPerItem=1 */
s_waitcnt vmcnt(0)                                 // lgkmcnt=-1 vmcnt=0wait for global read before writing to local
_ds_store_b32 v[vgprLocalWriteAddrB], v[vgprG2LB+29] offset:9280 // lwoB_0_0_29_0 = (0*LSCB)*(MT1J+PAD) + (29*LSPB) = 9280
v_mfma_f32_16x16x16f16 a[52+0:55+0], v[vgprValuA_X2_I0+16+2+0:vgprValuA_X2_I0+16+2+0+1], v[vgprValuB_X2_I0+4+2+0:vgprValuB_X2_I0+4+2+0+1], a[52:55]
/*  mfmaIndex:122  */
/* sched write - iter 3 writesPerItem=1 */
s_waitcnt vmcnt(0)                                 // lgkmcnt=-1 vmcnt=0wait for global read before writing to local
_ds_store_b32 v[vgprLocalWriteAddrB], v[vgprG2LB+30] offset:9600 // lwoB_0_0_30_0 = (0*LSCB)*(MT1J+PAD) + (30*LSPB) = 9600
v_mfma_f32_16x16x16f16 a[48+0:51+0], v[vgprValuA_X2_I0+12+2+0:vgprValuA_X2_I0+12+2+0+1], v[vgprValuB_X2_I0+4+2+0:vgprValuB_X2_I0+4+2+0+1], a[48:51]
/*  mfmaIndex:123  */
/* sched write - iter 3 writesPerItem=1 */
s_waitcnt vmcnt(0)                                 // lgkmcnt=-1 vmcnt=0wait for global read before writing to local
_ds_store_b32 v[vgprLocalWriteAddrB], v[vgprG2LB+31] offset:9920 // lwoB_0_0_31_0 = (0*LSCB)*(MT1J+PAD) + (31*LSPB) = 9920

/* local write swap offsets a */

/* local write swap offsets b */
v_mfma_f32_16x16x16f16 a[44+0:47+0], v[vgprValuA_X2_I0+8+2+0:vgprValuA_X2_I0+8+2+0+1], v[vgprValuB_X2_I0+4+2+0:vgprValuB_X2_I0+4+2+0+1], a[44:47]
/*  mfmaIndex:124  */
v_mfma_f32_16x16x16f16 a[40+0:43+0], v[vgprValuA_X2_I0+4+2+0:vgprValuA_X2_I0+4+2+0+1], v[vgprValuB_X2_I0+4+2+0:vgprValuB_X2_I0+4+2+0+1], a[40:43]
/*  mfmaIndex:125  */
v_mfma_f32_16x16x16f16 a[36+0:39+0], v[vgprValuA_X2_I0+0+2+0:vgprValuA_X2_I0+0+2+0+1], v[vgprValuB_X2_I0+4+2+0:vgprValuB_X2_I0+4+2+0+1], a[36:39]
/*  mfmaIndex:126  */
s_waitcnt lgkmcnt(0)                               // lgkmcnt=0 vmcnt=-13wait for local write
s_waitcnt lgkmcnt(0) & vmcnt(0)                    // force waitcnt0
s_barrier //
v_mfma_f32_16x16x16f16 a[72+0:75+0], v[vgprValuA_X2_I0+0+2+0:vgprValuA_X2_I0+0+2+0+1], v[vgprValuB_X2_I0+8+2+0:vgprValuB_X2_I0+8+2+0+1], a[72:75]
/*  mfmaIndex:127  */
_ds_load_b128 v[vgprValuA_X0_I0+0:vgprValuA_X0_I0+0+3], v[vgprLocalReadAddrA] offset:0 // L -> Reg lro=0 swapByteOffset=0 ti=16 vIdx=0 rIdx=0 oIdx=0 buffer=0 iui=0
v_mfma_f32_16x16x16f16 a[76+0:79+0], v[vgprValuA_X2_I0+4+2+0:vgprValuA_X2_I0+4+2+0+1], v[vgprValuB_X2_I0+8+2+0:vgprValuB_X2_I0+8+2+0+1], a[76:79]
/*  mfmaIndex:128  */
_ds_load_b128 v[vgprValuB_X0_I0+0:vgprValuB_X0_I0+0+3], v[vgprLocalReadAddrB] offset:0 // L -> Reg lro=0 swapByteOffset=0 ti=128 vIdx=0 rIdx=0 oIdx=0 buffer=0 iui=0
v_mfma_f32_16x16x16f16 a[80+0:83+0], v[vgprValuA_X2_I0+8+2+0:vgprValuA_X2_I0+8+2+0+1], v[vgprValuB_X2_I0+8+2+0:vgprValuB_X2_I0+8+2+0+1], a[80:83]
/*  mfmaIndex:129  */
_ds_load_b128 v[vgprValuA_X0_I0+4:vgprValuA_X0_I0+4+3], v[vgprLocalReadAddrA] offset:2560 // L -> Reg lro=0 swapByteOffset=0 ti=16 vIdx=1 rIdx=0 oIdx=0 buffer=0 iui=0
v_mfma_f32_16x16x16f16 a[84+0:87+0], v[vgprValuA_X2_I0+12+2+0:vgprValuA_X2_I0+12+2+0+1], v[vgprValuB_X2_I0+8+2+0:vgprValuB_X2_I0+8+2+0+1], a[84:87]
/*  mfmaIndex:130  */
_ds_load_b128 v[vgprValuA_X0_I0+8:vgprValuA_X0_I0+8+3], v[vgprLocalReadAddrA] offset:5120 // L -> Reg lro=0 swapByteOffset=0 ti=16 vIdx=2 rIdx=0 oIdx=0 buffer=0 iui=0
	;; [unrolled: 3-line block ×8, first 2 shown]
v_mfma_f32_16x16x16f16 a[136+0:139+0], v[vgprValuA_X2_I0+28+2+0:vgprValuA_X2_I0+28+2+0+1], v[vgprValuB_X2_I0+12+2+0:vgprValuB_X2_I0+12+2+0+1], a[136:139]
/*  mfmaIndex:137  */
_ds_load_b128 v[vgprValuB_X0_I0+4:vgprValuB_X0_I0+4+3], v[vgprLocalReadAddrB] offset:160 // L -> Reg lro=0 swapByteOffset=0 ti=128 vIdx=0 rIdx=0 oIdx=0 buffer=0 iui=0
v_mfma_f32_16x16x16f16 a[132+0:135+0], v[vgprValuA_X2_I0+24+2+0:vgprValuA_X2_I0+24+2+0+1], v[vgprValuB_X2_I0+12+2+0:vgprValuB_X2_I0+12+2+0+1], a[132:135]
/*  mfmaIndex:138  */
_ds_load_b128 v[vgprValuB_X0_I0+8:vgprValuB_X0_I0+8+3], v[vgprLocalReadAddrB] offset:20480 // L -> Reg lro=0 swapByteOffset=0 ti=128 vIdx=1 rIdx=0 oIdx=0 buffer=0 iui=0
	;; [unrolled: 3-line block ×3, first 2 shown]
v_mfma_f32_16x16x16f16 a[124+0:127+0], v[vgprValuA_X2_I0+16+2+0:vgprValuA_X2_I0+16+2+0+1], v[vgprValuB_X2_I0+12+2+0:vgprValuB_X2_I0+12+2+0+1], a[124:127]
/*  mfmaIndex:140  */
v_mfma_f32_16x16x16f16 a[120+0:123+0], v[vgprValuA_X2_I0+12+2+0:vgprValuA_X2_I0+12+2+0+1], v[vgprValuB_X2_I0+12+2+0:vgprValuB_X2_I0+12+2+0+1], a[120:123]
/*  mfmaIndex:141  */
	;; [unrolled: 2-line block ×4, first 2 shown]
v_mfma_f32_16x16x16f16 a[108+0:111+0], v[vgprValuA_X2_I0+0+2+0:vgprValuA_X2_I0+0+2+0+1], v[vgprValuB_X2_I0+12+2+0:vgprValuB_X2_I0+12+2+0+1], a[108:111]


/******************************************/
/* Unrolled Loop - End 1/2                */
/******************************************/


/* closeLoop loopL finalLoop=0 tailLoop=0 */
s_sub_u32 s[sgprLoopCounterL], s[sgprLoopCounterL], 1 // dec counterL
s_cmp_eq_i32 s[sgprLoopCounterL], 0x1              // counterL==1
s_cbranch_scc1 LoopEndL_oddexit_3                  // exit LoopL


/******************************************/
/* Unrolled Loop 2/2 - Begin              */
/******************************************/

label_0014: // LoopCopy2 


/* Begin Each Unroll: Check VGPR.checkin for INT8 LW */



/* iter 0 */

/*  grEndMfmaIndex:49, lwStartMfmaIndex:74, lwEndMfmaIndex:123  */
/*  numMfmaForLR:17, barrierMfmaIndex:126 */
/*  mfmaIndex:0  */
_buffer_load_b32 v[vgprG2LA+0], v[vgprGlobalReadOffsetA+0], s[sgprSrdA:sgprSrdA+3], 0, offen offset:0 // G -> Reg 0_0_0_0
s_waitcnt lgkmcnt(0)                               // lgkmcnt=0 vmcnt=-1wait for prior local read local write old=0, new=0 newLW=0 newLR=0
v_mfma_f32_16x16x16f16 a[0+0:3+0], v[vgprValuA_X0_I0+0+0+0:vgprValuA_X0_I0+0+0+0+1], v[vgprValuB_X0_I0+0+0+0:vgprValuB_X0_I0+0+0+0+1], a[0:3]
/*  mfmaIndex:1  */
_ds_load_b128 v[vgprValuA_X2_I0+0:vgprValuA_X2_I0+0+3], v[vgprLocalReadAddrA] offset:64 // L -> Reg lro=32 swapByteOffset=0 ti=16 vIdx=0 rIdx=0 oIdx=0 buffer=2 iui=0
_buffer_load_b32 v[vgprG2LA+1], v[vgprGlobalReadOffsetA+1], s[sgprSrdA:sgprSrdA+3], 0, offen offset:0 // G -> Reg 0_0_1_0
v_mfma_f32_16x16x16f16 a[4+0:7+0], v[vgprValuA_X0_I0+4+0+0:vgprValuA_X0_I0+4+0+0+1], v[vgprValuB_X0_I0+0+0+0:vgprValuB_X0_I0+0+0+0+1], a[4:7]
/*  mfmaIndex:2  */
_ds_load_b128 v[vgprValuB_X2_I0+0:vgprValuB_X2_I0+0+3], v[vgprLocalReadAddrB] offset:64 // L -> Reg lro=32 swapByteOffset=0 ti=128 vIdx=0 rIdx=0 oIdx=0 buffer=2 iui=0
_buffer_load_b32 v[vgprG2LA+2], v[vgprGlobalReadOffsetA+2], s[sgprSrdA:sgprSrdA+3], 0, offen offset:0 // G -> Reg 0_0_2_0
v_mfma_f32_16x16x16f16 a[8+0:11+0], v[vgprValuA_X0_I0+8+0+0:vgprValuA_X0_I0+8+0+0+1], v[vgprValuB_X0_I0+0+0+0:vgprValuB_X0_I0+0+0+0+1], a[8:11]
/*  mfmaIndex:3  */
_ds_load_b128 v[vgprValuA_X2_I0+4:vgprValuA_X2_I0+4+3], v[vgprLocalReadAddrA] offset:2624 // L -> Reg lro=32 swapByteOffset=0 ti=16 vIdx=1 rIdx=0 oIdx=0 buffer=2 iui=0
_buffer_load_b32 v[vgprG2LA+3], v[vgprGlobalReadOffsetA+3], s[sgprSrdA:sgprSrdA+3], 0, offen offset:0 // G -> Reg 0_0_3_0
v_mfma_f32_16x16x16f16 a[12+0:15+0], v[vgprValuA_X0_I0+12+0+0:vgprValuA_X0_I0+12+0+0+1], v[vgprValuB_X0_I0+0+0+0:vgprValuB_X0_I0+0+0+0+1], a[12:15]
/*  mfmaIndex:4  */
_ds_load_b128 v[vgprValuA_X2_I0+8:vgprValuA_X2_I0+8+3], v[vgprLocalReadAddrA] offset:5184 // L -> Reg lro=32 swapByteOffset=0 ti=16 vIdx=2 rIdx=0 oIdx=0 buffer=2 iui=0
_buffer_load_b32 v[vgprG2LA+4], v[vgprGlobalReadOffsetA+4], s[sgprSrdA:sgprSrdA+3], 0, offen offset:0 // G -> Reg 0_0_4_0
v_mfma_f32_16x16x16f16 a[16+0:19+0], v[vgprValuA_X0_I0+16+0+0:vgprValuA_X0_I0+16+0+0+1], v[vgprValuB_X0_I0+0+0+0:vgprValuB_X0_I0+0+0+0+1], a[16:19]
/*  mfmaIndex:5  */
_ds_load_b128 v[vgprValuA_X2_I0+12:vgprValuA_X2_I0+12+3], v[vgprLocalReadAddrA] offset:7744 // L -> Reg lro=32 swapByteOffset=0 ti=16 vIdx=3 rIdx=0 oIdx=0 buffer=2 iui=0
_buffer_load_b32 v[vgprG2LA+5], v[vgprGlobalReadOffsetA+5], s[sgprSrdA:sgprSrdA+3], 0, offen offset:0 // G -> Reg 0_0_5_0
v_mfma_f32_16x16x16f16 a[20+0:23+0], v[vgprValuA_X0_I0+20+0+0:vgprValuA_X0_I0+20+0+0+1], v[vgprValuB_X0_I0+0+0+0:vgprValuB_X0_I0+0+0+0+1], a[20:23]
/*  mfmaIndex:6  */
_ds_load_b128 v[vgprValuA_X2_I0+16:vgprValuA_X2_I0+16+3], v[vgprLocalReadAddrA] offset:10304 // L -> Reg lro=32 swapByteOffset=0 ti=16 vIdx=4 rIdx=0 oIdx=0 buffer=2 iui=0
_buffer_load_b32 v[vgprG2LA+6], v[vgprGlobalReadOffsetA+6], s[sgprSrdA:sgprSrdA+3], 0, offen offset:0 // G -> Reg 0_0_6_0
v_mfma_f32_16x16x16f16 a[24+0:27+0], v[vgprValuA_X0_I0+24+0+0:vgprValuA_X0_I0+24+0+0+1], v[vgprValuB_X0_I0+0+0+0:vgprValuB_X0_I0+0+0+0+1], a[24:27]
/*  mfmaIndex:7  */
_ds_load_b128 v[vgprValuA_X2_I0+20:vgprValuA_X2_I0+20+3], v[vgprLocalReadAddrA] offset:12864 // L -> Reg lro=32 swapByteOffset=0 ti=16 vIdx=5 rIdx=0 oIdx=0 buffer=2 iui=0
_buffer_load_b32 v[vgprG2LA+7], v[vgprGlobalReadOffsetA+7], s[sgprSrdA:sgprSrdA+3], 0, offen offset:0 // G -> Reg 0_0_7_0
v_mfma_f32_16x16x16f16 a[28+0:31+0], v[vgprValuA_X0_I0+28+0+0:vgprValuA_X0_I0+28+0+0+1], v[vgprValuB_X0_I0+0+0+0:vgprValuB_X0_I0+0+0+0+1], a[28:31]
/*  mfmaIndex:8  */
_ds_load_b128 v[vgprValuA_X2_I0+24:vgprValuA_X2_I0+24+3], v[vgprLocalReadAddrA] offset:15424 // L -> Reg lro=32 swapByteOffset=0 ti=16 vIdx=6 rIdx=0 oIdx=0 buffer=2 iui=0
_buffer_load_b32 v[vgprG2LA+8], v[vgprGlobalReadOffsetA+8], s[sgprSrdA:sgprSrdA+3], 0, offen offset:0 // G -> Reg 0_0_8_0
v_mfma_f32_16x16x16f16 a[32+0:35+0], v[vgprValuA_X0_I0+32+0+0:vgprValuA_X0_I0+32+0+0+1], v[vgprValuB_X0_I0+0+0+0:vgprValuB_X0_I0+0+0+0+1], a[32:35]
/*  mfmaIndex:9  */
_ds_load_b128 v[vgprValuA_X2_I0+28:vgprValuA_X2_I0+28+3], v[vgprLocalReadAddrA] offset:17984 // L -> Reg lro=32 swapByteOffset=0 ti=16 vIdx=7 rIdx=0 oIdx=0 buffer=2 iui=0
_buffer_load_b32 v[vgprG2LA+9], v[vgprGlobalReadOffsetA+9], s[sgprSrdA:sgprSrdA+3], 0, offen offset:0 // G -> Reg 0_0_9_0
v_mfma_f32_16x16x16f16 a[68+0:71+0], v[vgprValuA_X0_I0+32+0+0:vgprValuA_X0_I0+32+0+0+1], v[vgprValuB_X0_I0+4+0+0:vgprValuB_X0_I0+4+0+0+1], a[68:71]
/*  mfmaIndex:10  */
_ds_load_b128 v[vgprValuA_X2_I0+32:vgprValuA_X2_I0+32+3], v[vgprLocalReadAddrA] offset:20544 // L -> Reg lro=32 swapByteOffset=0 ti=16 vIdx=8 rIdx=0 oIdx=0 buffer=2 iui=0
_buffer_load_b32 v[vgprG2LA+10], v[vgprGlobalReadOffsetA+10], s[sgprSrdA:sgprSrdA+3], 0, offen offset:0 // G -> Reg 0_0_10_0
v_mfma_f32_16x16x16f16 a[64+0:67+0], v[vgprValuA_X0_I0+28+0+0:vgprValuA_X0_I0+28+0+0+1], v[vgprValuB_X0_I0+4+0+0:vgprValuB_X0_I0+4+0+0+1], a[64:67]
/*  mfmaIndex:11  */
_ds_load_b128 v[vgprValuB_X2_I0+4:vgprValuB_X2_I0+4+3], v[vgprLocalReadAddrB] offset:224 // L -> Reg lro=32 swapByteOffset=0 ti=128 vIdx=0 rIdx=0 oIdx=0 buffer=2 iui=0
_buffer_load_b32 v[vgprG2LA+11], v[vgprGlobalReadOffsetA+11], s[sgprSrdA:sgprSrdA+3], 0, offen offset:0 // G -> Reg 0_0_11_0
v_mfma_f32_16x16x16f16 a[60+0:63+0], v[vgprValuA_X0_I0+24+0+0:vgprValuA_X0_I0+24+0+0+1], v[vgprValuB_X0_I0+4+0+0:vgprValuB_X0_I0+4+0+0+1], a[60:63]
/*  mfmaIndex:12  */
_ds_load_b128 v[vgprValuB_X2_I0+8:vgprValuB_X2_I0+8+3], v[vgprLocalReadAddrB] offset:20544 // L -> Reg lro=32 swapByteOffset=0 ti=128 vIdx=1 rIdx=0 oIdx=0 buffer=2 iui=0
_buffer_load_b32 v[vgprG2LA+12], v[vgprGlobalReadOffsetA+12], s[sgprSrdA:sgprSrdA+3], 0, offen offset:0 // G -> Reg 0_0_12_0
v_mfma_f32_16x16x16f16 a[56+0:59+0], v[vgprValuA_X0_I0+20+0+0:vgprValuA_X0_I0+20+0+0+1], v[vgprValuB_X0_I0+4+0+0:vgprValuB_X0_I0+4+0+0+1], a[56:59]
/*  mfmaIndex:13  */
_ds_load_b128 v[vgprValuB_X2_I0+12:vgprValuB_X2_I0+12+3], v[vgprLocalReadAddrB] offset:20704 // L -> Reg lro=32 swapByteOffset=0 ti=128 vIdx=1 rIdx=0 oIdx=0 buffer=2 iui=0
/* localReadsVacancy: latencyLeft 1 */
_buffer_load_b32 v[vgprG2LA+13], v[vgprGlobalReadOffsetA+13], s[sgprSrdA:sgprSrdA+3], 0, offen offset:0 // G -> Reg 0_0_13_0
v_mfma_f32_16x16x16f16 a[52+0:55+0], v[vgprValuA_X0_I0+16+0+0:vgprValuA_X0_I0+16+0+0+1], v[vgprValuB_X0_I0+4+0+0:vgprValuB_X0_I0+4+0+0+1], a[52:55]
/*  mfmaIndex:14  */
/* localReadsVacancy: latencyLeft 5 */
_buffer_load_b32 v[vgprG2LA+14], v[vgprGlobalReadOffsetA+14], s[sgprSrdA:sgprSrdA+3], 0, offen offset:0 // G -> Reg 0_0_14_0
v_mfma_f32_16x16x16f16 a[48+0:51+0], v[vgprValuA_X0_I0+12+0+0:vgprValuA_X0_I0+12+0+0+1], v[vgprValuB_X0_I0+4+0+0:vgprValuB_X0_I0+4+0+0+1], a[48:51]
/*  mfmaIndex:15  */
/* localReadsVacancy: latencyLeft 5 */
_buffer_load_b32 v[vgprG2LA+15], v[vgprGlobalReadOffsetA+15], s[sgprSrdA:sgprSrdA+3], 0, offen offset:0 // G -> Reg 0_0_15_0
v_mfma_f32_16x16x16f16 a[44+0:47+0], v[vgprValuA_X0_I0+8+0+0:vgprValuA_X0_I0+8+0+0+1], v[vgprValuB_X0_I0+4+0+0:vgprValuB_X0_I0+4+0+0+1], a[44:47]
/*  mfmaIndex:16  */
/* localReadsVacancy: latencyLeft 5 */
_buffer_load_b32 v[vgprG2LA+16], v[vgprGlobalReadOffsetA+16], s[sgprSrdA:sgprSrdA+3], 0, offen offset:0 // G -> Reg 0_0_16_0
v_mfma_f32_16x16x16f16 a[40+0:43+0], v[vgprValuA_X0_I0+4+0+0:vgprValuA_X0_I0+4+0+0+1], v[vgprValuB_X0_I0+4+0+0:vgprValuB_X0_I0+4+0+0+1], a[40:43]
/*  mfmaIndex:17  */
/* localReadsVacancy: latencyLeft 5 */
_buffer_load_b32 v[vgprG2LA+17], v[vgprGlobalReadOffsetA+17], s[sgprSrdA:sgprSrdA+3], 0, offen offset:0 // G -> Reg 0_0_17_0
v_mfma_f32_16x16x16f16 a[36+0:39+0], v[vgprValuA_X0_I0+0+0+0:vgprValuA_X0_I0+0+0+0+1], v[vgprValuB_X0_I0+4+0+0:vgprValuB_X0_I0+4+0+0+1], a[36:39]
/*  mfmaIndex:18  */
/* localReadsVacancy: latencyLeft 5 */
_buffer_load_b32 v[vgprG2LB+0], v[vgprGlobalReadOffsetB+0], s[sgprSrdB:sgprSrdB+3], 0, offen offset:0 // G -> Reg 0_0_0_0
v_mfma_f32_16x16x16f16 a[72+0:75+0], v[vgprValuA_X0_I0+0+0+0:vgprValuA_X0_I0+0+0+0+1], v[vgprValuB_X0_I0+8+0+0:vgprValuB_X0_I0+8+0+0+1], a[72:75]
/*  mfmaIndex:19  */
/* localReadsVacancy: latencyLeft 5 */
_buffer_load_b32 v[vgprG2LB+1], v[vgprGlobalReadOffsetB+1], s[sgprSrdB:sgprSrdB+3], 0, offen offset:0 // G -> Reg 0_0_1_0
v_mfma_f32_16x16x16f16 a[76+0:79+0], v[vgprValuA_X0_I0+4+0+0:vgprValuA_X0_I0+4+0+0+1], v[vgprValuB_X0_I0+8+0+0:vgprValuB_X0_I0+8+0+0+1], a[76:79]
/*  mfmaIndex:20  */
/* localReadsVacancy: latencyLeft 5 */
_buffer_load_b32 v[vgprG2LB+2], v[vgprGlobalReadOffsetB+2], s[sgprSrdB:sgprSrdB+3], 0, offen offset:0 // G -> Reg 0_0_2_0
v_mfma_f32_16x16x16f16 a[80+0:83+0], v[vgprValuA_X0_I0+8+0+0:vgprValuA_X0_I0+8+0+0+1], v[vgprValuB_X0_I0+8+0+0:vgprValuB_X0_I0+8+0+0+1], a[80:83]
/*  mfmaIndex:21  */
/* localReadsVacancy: latencyLeft 5 */
_buffer_load_b32 v[vgprG2LB+3], v[vgprGlobalReadOffsetB+3], s[sgprSrdB:sgprSrdB+3], 0, offen offset:0 // G -> Reg 0_0_3_0
v_mfma_f32_16x16x16f16 a[84+0:87+0], v[vgprValuA_X0_I0+12+0+0:vgprValuA_X0_I0+12+0+0+1], v[vgprValuB_X0_I0+8+0+0:vgprValuB_X0_I0+8+0+0+1], a[84:87]
/*  mfmaIndex:22  */
/* localReadsVacancy: latencyLeft 5 */
_buffer_load_b32 v[vgprG2LB+4], v[vgprGlobalReadOffsetB+4], s[sgprSrdB:sgprSrdB+3], 0, offen offset:0 // G -> Reg 0_0_4_0
v_mfma_f32_16x16x16f16 a[88+0:91+0], v[vgprValuA_X0_I0+16+0+0:vgprValuA_X0_I0+16+0+0+1], v[vgprValuB_X0_I0+8+0+0:vgprValuB_X0_I0+8+0+0+1], a[88:91]
/*  mfmaIndex:23  */
/* localReadsVacancy: latencyLeft 5 */
_buffer_load_b32 v[vgprG2LB+5], v[vgprGlobalReadOffsetB+5], s[sgprSrdB:sgprSrdB+3], 0, offen offset:0 // G -> Reg 0_0_5_0
v_mfma_f32_16x16x16f16 a[92+0:95+0], v[vgprValuA_X0_I0+20+0+0:vgprValuA_X0_I0+20+0+0+1], v[vgprValuB_X0_I0+8+0+0:vgprValuB_X0_I0+8+0+0+1], a[92:95]
/*  mfmaIndex:24  */
/* localReadsVacancy: latencyLeft 5 */
_buffer_load_b32 v[vgprG2LB+6], v[vgprGlobalReadOffsetB+6], s[sgprSrdB:sgprSrdB+3], 0, offen offset:0 // G -> Reg 0_0_6_0
v_mfma_f32_16x16x16f16 a[96+0:99+0], v[vgprValuA_X0_I0+24+0+0:vgprValuA_X0_I0+24+0+0+1], v[vgprValuB_X0_I0+8+0+0:vgprValuB_X0_I0+8+0+0+1], a[96:99]
/*  mfmaIndex:25  */
/* localReadsVacancy: latencyLeft 5 */
_buffer_load_b32 v[vgprG2LB+7], v[vgprGlobalReadOffsetB+7], s[sgprSrdB:sgprSrdB+3], 0, offen offset:0 // G -> Reg 0_0_7_0
v_mfma_f32_16x16x16f16 a[100+0:103+0], v[vgprValuA_X0_I0+28+0+0:vgprValuA_X0_I0+28+0+0+1], v[vgprValuB_X0_I0+8+0+0:vgprValuB_X0_I0+8+0+0+1], a[100:103]
/*  mfmaIndex:26  */
/* localReadsVacancy: latencyLeft 5 */
_buffer_load_b32 v[vgprG2LB+8], v[vgprGlobalReadOffsetB+8], s[sgprSrdB:sgprSrdB+3], 0, offen offset:0 // G -> Reg 0_0_8_0
v_mfma_f32_16x16x16f16 a[104+0:107+0], v[vgprValuA_X0_I0+32+0+0:vgprValuA_X0_I0+32+0+0+1], v[vgprValuB_X0_I0+8+0+0:vgprValuB_X0_I0+8+0+0+1], a[104:107]
/*  mfmaIndex:27  */
/* localReadsVacancy: latencyLeft 5 */
_buffer_load_b32 v[vgprG2LB+9], v[vgprGlobalReadOffsetB+9], s[sgprSrdB:sgprSrdB+3], 0, offen offset:0 // G -> Reg 0_0_9_0
v_mfma_f32_16x16x16f16 a[140+0:143+0], v[vgprValuA_X0_I0+32+0+0:vgprValuA_X0_I0+32+0+0+1], v[vgprValuB_X0_I0+12+0+0:vgprValuB_X0_I0+12+0+0+1], a[140:143]
/*  mfmaIndex:28  */
/* localReadsVacancy: latencyLeft 5 */
_buffer_load_b32 v[vgprG2LB+10], v[vgprGlobalReadOffsetB+10], s[sgprSrdB:sgprSrdB+3], 0, offen offset:0 // G -> Reg 0_0_10_0
v_mfma_f32_16x16x16f16 a[136+0:139+0], v[vgprValuA_X0_I0+28+0+0:vgprValuA_X0_I0+28+0+0+1], v[vgprValuB_X0_I0+12+0+0:vgprValuB_X0_I0+12+0+0+1], a[136:139]
/*  mfmaIndex:29  */
/* localReadsVacancy: latencyLeft 5 */
_buffer_load_b32 v[vgprG2LB+11], v[vgprGlobalReadOffsetB+11], s[sgprSrdB:sgprSrdB+3], 0, offen offset:0 // G -> Reg 0_0_11_0
v_mfma_f32_16x16x16f16 a[132+0:135+0], v[vgprValuA_X0_I0+24+0+0:vgprValuA_X0_I0+24+0+0+1], v[vgprValuB_X0_I0+12+0+0:vgprValuB_X0_I0+12+0+0+1], a[132:135]
/*  mfmaIndex:30  */
/* localReadsVacancy: latencyLeft 5 */
_buffer_load_b32 v[vgprG2LB+12], v[vgprGlobalReadOffsetB+12], s[sgprSrdB:sgprSrdB+3], 0, offen offset:0 // G -> Reg 0_0_12_0
v_mfma_f32_16x16x16f16 a[128+0:131+0], v[vgprValuA_X0_I0+20+0+0:vgprValuA_X0_I0+20+0+0+1], v[vgprValuB_X0_I0+12+0+0:vgprValuB_X0_I0+12+0+0+1], a[128:131]
/*  mfmaIndex:31  */
/* localReadsVacancy: latencyLeft 5 */
_buffer_load_b32 v[vgprG2LB+13], v[vgprGlobalReadOffsetB+13], s[sgprSrdB:sgprSrdB+3], 0, offen offset:0 // G -> Reg 0_0_13_0
v_mfma_f32_16x16x16f16 a[124+0:127+0], v[vgprValuA_X0_I0+16+0+0:vgprValuA_X0_I0+16+0+0+1], v[vgprValuB_X0_I0+12+0+0:vgprValuB_X0_I0+12+0+0+1], a[124:127]
/*  mfmaIndex:32  */
/* localReadsVacancy: latencyLeft 5 */
_buffer_load_b32 v[vgprG2LB+14], v[vgprGlobalReadOffsetB+14], s[sgprSrdB:sgprSrdB+3], 0, offen offset:0 // G -> Reg 0_0_14_0
v_mfma_f32_16x16x16f16 a[120+0:123+0], v[vgprValuA_X0_I0+12+0+0:vgprValuA_X0_I0+12+0+0+1], v[vgprValuB_X0_I0+12+0+0:vgprValuB_X0_I0+12+0+0+1], a[120:123]
/*  mfmaIndex:33  */
/* localReadsVacancy: latencyLeft 5 */
_buffer_load_b32 v[vgprG2LB+15], v[vgprGlobalReadOffsetB+15], s[sgprSrdB:sgprSrdB+3], 0, offen offset:0 // G -> Reg 0_0_15_0
v_mfma_f32_16x16x16f16 a[116+0:119+0], v[vgprValuA_X0_I0+8+0+0:vgprValuA_X0_I0+8+0+0+1], v[vgprValuB_X0_I0+12+0+0:vgprValuB_X0_I0+12+0+0+1], a[116:119]
/*  mfmaIndex:34  */
/* localReadsVacancy: latencyLeft 5 */
_buffer_load_b32 v[vgprG2LB+16], v[vgprGlobalReadOffsetB+16], s[sgprSrdB:sgprSrdB+3], 0, offen offset:0 // G -> Reg 0_0_16_0
v_mfma_f32_16x16x16f16 a[112+0:115+0], v[vgprValuA_X0_I0+4+0+0:vgprValuA_X0_I0+4+0+0+1], v[vgprValuB_X0_I0+12+0+0:vgprValuB_X0_I0+12+0+0+1], a[112:115]
/*  mfmaIndex:35  */
/* localReadsVacancy: latencyLeft 5 */
_buffer_load_b32 v[vgprG2LB+17], v[vgprGlobalReadOffsetB+17], s[sgprSrdB:sgprSrdB+3], 0, offen offset:0 // G -> Reg 0_0_17_0
v_mfma_f32_16x16x16f16 a[108+0:111+0], v[vgprValuA_X0_I0+0+0+0:vgprValuA_X0_I0+0+0+0+1], v[vgprValuB_X0_I0+12+0+0:vgprValuB_X0_I0+12+0+0+1], a[108:111]
/* numPrefetchIter=0 */
/* dataAtIterA=-1 numReadsIterA=1 skipReadsIterA=1 readsPerIterA=9 */
/* dataAtIterB=-1 numReadsIterB=1 skipReadsIterB=1 readsPerIterB=4 */


/* iter 1 */

/*  grEndMfmaIndex:49, lwStartMfmaIndex:74, lwEndMfmaIndex:123  */
/*  numMfmaForLR:17, barrierMfmaIndex:126 */
/*  mfmaIndex:36  */
/* localReadsVacancy: latencyLeft 5 */
_buffer_load_b32 v[vgprG2LB+18], v[vgprGlobalReadOffsetB+18], s[sgprSrdB:sgprSrdB+3], 0, offen offset:0 // G -> Reg 0_0_18_0
s_waitcnt lgkmcnt(13)                              // lgkmcnt=0 vmcnt=-1wait for prior local read local write old=0, new=13 newLW=0 newLR=13
v_mfma_f32_16x16x16f16 a[0+0:3+0], v[vgprValuA_X0_I0+0+2+0:vgprValuA_X0_I0+0+2+0+1], v[vgprValuB_X0_I0+0+2+0:vgprValuB_X0_I0+0+2+0+1], a[0:3]
/*  mfmaIndex:37  */
/* localReadsVacancy: latencyLeft 5 */
_buffer_load_b32 v[vgprG2LB+19], v[vgprGlobalReadOffsetB+19], s[sgprSrdB:sgprSrdB+3], 0, offen offset:0 // G -> Reg 0_0_19_0
v_mfma_f32_16x16x16f16 a[4+0:7+0], v[vgprValuA_X0_I0+4+2+0:vgprValuA_X0_I0+4+2+0+1], v[vgprValuB_X0_I0+0+2+0:vgprValuB_X0_I0+0+2+0+1], a[4:7]
/*  mfmaIndex:38  */
/* localReadsVacancy: latencyLeft 5 */
_buffer_load_b32 v[vgprG2LB+20], v[vgprGlobalReadOffsetB+20], s[sgprSrdB:sgprSrdB+3], 0, offen offset:0 // G -> Reg 0_0_20_0
v_mfma_f32_16x16x16f16 a[8+0:11+0], v[vgprValuA_X0_I0+8+2+0:vgprValuA_X0_I0+8+2+0+1], v[vgprValuB_X0_I0+0+2+0:vgprValuB_X0_I0+0+2+0+1], a[8:11]
/*  mfmaIndex:39  */
/* localReadsVacancy: latencyLeft 5 */
_buffer_load_b32 v[vgprG2LB+21], v[vgprGlobalReadOffsetB+21], s[sgprSrdB:sgprSrdB+3], 0, offen offset:0 // G -> Reg 0_0_21_0
v_mfma_f32_16x16x16f16 a[12+0:15+0], v[vgprValuA_X0_I0+12+2+0:vgprValuA_X0_I0+12+2+0+1], v[vgprValuB_X0_I0+0+2+0:vgprValuB_X0_I0+0+2+0+1], a[12:15]
/*  mfmaIndex:40  */
/* localReadsVacancy: latencyLeft 5 */
_buffer_load_b32 v[vgprG2LB+22], v[vgprGlobalReadOffsetB+22], s[sgprSrdB:sgprSrdB+3], 0, offen offset:0 // G -> Reg 0_0_22_0
v_mfma_f32_16x16x16f16 a[16+0:19+0], v[vgprValuA_X0_I0+16+2+0:vgprValuA_X0_I0+16+2+0+1], v[vgprValuB_X0_I0+0+2+0:vgprValuB_X0_I0+0+2+0+1], a[16:19]
/*  mfmaIndex:41  */
/* localReadsVacancy: latencyLeft 5 */
_buffer_load_b32 v[vgprG2LB+23], v[vgprGlobalReadOffsetB+23], s[sgprSrdB:sgprSrdB+3], 0, offen offset:0 // G -> Reg 0_0_23_0
v_mfma_f32_16x16x16f16 a[20+0:23+0], v[vgprValuA_X0_I0+20+2+0:vgprValuA_X0_I0+20+2+0+1], v[vgprValuB_X0_I0+0+2+0:vgprValuB_X0_I0+0+2+0+1], a[20:23]
/*  mfmaIndex:42  */
/* localReadsVacancy: latencyLeft 5 */
_buffer_load_b32 v[vgprG2LB+24], v[vgprGlobalReadOffsetB+24], s[sgprSrdB:sgprSrdB+3], 0, offen offset:0 // G -> Reg 0_0_24_0
v_mfma_f32_16x16x16f16 a[24+0:27+0], v[vgprValuA_X0_I0+24+2+0:vgprValuA_X0_I0+24+2+0+1], v[vgprValuB_X0_I0+0+2+0:vgprValuB_X0_I0+0+2+0+1], a[24:27]
/*  mfmaIndex:43  */
/* localReadsVacancy: latencyLeft 5 */
_buffer_load_b32 v[vgprG2LB+25], v[vgprGlobalReadOffsetB+25], s[sgprSrdB:sgprSrdB+3], 0, offen offset:0 // G -> Reg 0_0_25_0
v_mfma_f32_16x16x16f16 a[28+0:31+0], v[vgprValuA_X0_I0+28+2+0:vgprValuA_X0_I0+28+2+0+1], v[vgprValuB_X0_I0+0+2+0:vgprValuB_X0_I0+0+2+0+1], a[28:31]
/*  mfmaIndex:44  */
/* localReadsVacancy: latencyLeft 5 */
_buffer_load_b32 v[vgprG2LB+26], v[vgprGlobalReadOffsetB+26], s[sgprSrdB:sgprSrdB+3], 0, offen offset:0 // G -> Reg 0_0_26_0
v_mfma_f32_16x16x16f16 a[32+0:35+0], v[vgprValuA_X0_I0+32+2+0:vgprValuA_X0_I0+32+2+0+1], v[vgprValuB_X0_I0+0+2+0:vgprValuB_X0_I0+0+2+0+1], a[32:35]
/*  mfmaIndex:45  */
/* localReadsVacancy: latencyLeft 5 */
_buffer_load_b32 v[vgprG2LB+27], v[vgprGlobalReadOffsetB+27], s[sgprSrdB:sgprSrdB+3], 0, offen offset:0 // G -> Reg 0_0_27_0
v_mfma_f32_16x16x16f16 a[68+0:71+0], v[vgprValuA_X0_I0+32+2+0:vgprValuA_X0_I0+32+2+0+1], v[vgprValuB_X0_I0+4+2+0:vgprValuB_X0_I0+4+2+0+1], a[68:71]
/*  mfmaIndex:46  */
/* localReadsVacancy: latencyLeft 5 */
_buffer_load_b32 v[vgprG2LB+28], v[vgprGlobalReadOffsetB+28], s[sgprSrdB:sgprSrdB+3], 0, offen offset:0 // G -> Reg 0_0_28_0
v_mfma_f32_16x16x16f16 a[64+0:67+0], v[vgprValuA_X0_I0+28+2+0:vgprValuA_X0_I0+28+2+0+1], v[vgprValuB_X0_I0+4+2+0:vgprValuB_X0_I0+4+2+0+1], a[64:67]
/*  mfmaIndex:47  */
/* localReadsVacancy: latencyLeft 5 */
_buffer_load_b32 v[vgprG2LB+29], v[vgprGlobalReadOffsetB+29], s[sgprSrdB:sgprSrdB+3], 0, offen offset:0 // G -> Reg 0_0_29_0
v_mfma_f32_16x16x16f16 a[60+0:63+0], v[vgprValuA_X0_I0+24+2+0:vgprValuA_X0_I0+24+2+0+1], v[vgprValuB_X0_I0+4+2+0:vgprValuB_X0_I0+4+2+0+1], a[60:63]
/*  mfmaIndex:48  */
/* localReadsVacancy: latencyLeft 5 */
_buffer_load_b32 v[vgprG2LB+30], v[vgprGlobalReadOffsetB+30], s[sgprSrdB:sgprSrdB+3], 0, offen offset:0 // G -> Reg 0_0_30_0
v_mfma_f32_16x16x16f16 a[56+0:59+0], v[vgprValuA_X0_I0+20+2+0:vgprValuA_X0_I0+20+2+0+1], v[vgprValuB_X0_I0+4+2+0:vgprValuB_X0_I0+4+2+0+1], a[56:59]
/*  mfmaIndex:49  */
/* localReadsVacancy: latencyLeft 5 */
_buffer_load_b32 v[vgprG2LB+31], v[vgprGlobalReadOffsetB+31], s[sgprSrdB:sgprSrdB+3], 0, offen offset:0 // G -> Reg 0_0_31_0
v_mfma_f32_16x16x16f16 a[52+0:55+0], v[vgprValuA_X0_I0+16+2+0:vgprValuA_X0_I0+16+2+0+1], v[vgprValuB_X0_I0+4+2+0:vgprValuB_X0_I0+4+2+0+1], a[52:55]
/*  mfmaIndex:50  */
/* localReadsVacancy: latencyLeft 5 */

/* global read inc A loopL */
s_cmp_eq_u32 s[sgprLoopCounterL], s[sgprStaggerUIter] // Is this the wrapIter?
s_cselect_b32 s56, s[sgprWrapUA+0], s[sgprGlobalReadIncsA+0] // incLower <- ?
s_cselect_b32 s57, s[sgprWrapUA+1], 0              // incUpper <- ?
v_mfma_f32_16x16x16f16 a[48+0:51+0], v[vgprValuA_X0_I0+12+2+0:vgprValuA_X0_I0+12+2+0+1], v[vgprValuB_X0_I0+4+2+0:vgprValuB_X0_I0+4+2+0+1], a[48:51]
/*  mfmaIndex:51  */
/* localReadsVacancy: latencyLeft 5 */
s_add_u32 s[sgprSrdA+0], s[sgprSrdA+0], s56        // gra SRD += inc(lower)
s_addc_u32  s[sgprSrdA+1], s[sgprSrdA+1], s57      // gra SRD += inc(upper)
s_sub_u32 s[sgprShadowLimitA+0], s[sgprShadowLimitA+0], s56 // limit -= inc)
v_mfma_f32_16x16x16f16 a[44+0:47+0], v[vgprValuA_X0_I0+8+2+0:vgprValuA_X0_I0+8+2+0+1], v[vgprValuB_X0_I0+4+2+0:vgprValuB_X0_I0+4+2+0+1], a[44:47]
/*  mfmaIndex:52  */
/* localReadsVacancy: latencyLeft 5 */
s_subb_u32 s[sgprShadowLimitA+1], s[sgprShadowLimitA+1], s57 // limit -= inc)
s_cmp_eq_u32 s[sgprShadowLimitA+1], 0              // are we within 2^32?
s_cselect_b32 s[sgprSrdA+2], s[sgprShadowLimitA+0], BufferLimitA // Move shadow to real if we are within 2^32
v_mfma_f32_16x16x16f16 a[40+0:43+0], v[vgprValuA_X0_I0+4+2+0:vgprValuA_X0_I0+4+2+0+1], v[vgprValuB_X0_I0+4+2+0:vgprValuB_X0_I0+4+2+0+1], a[40:43]
/*  mfmaIndex:53  */
/* localReadsVacancy: latencyLeft 5 */

/* global read inc B loopL */
s_cmp_eq_u32 s[sgprLoopCounterL], s[sgprStaggerUIter] // Is this the wrapIter?
s_cselect_b32 s56, s[sgprWrapUB+0], s[sgprGlobalReadIncsB+0] // incLower <- ?
s_cselect_b32 s57, s[sgprWrapUB+1], 0              // incUpper <- ?
v_mfma_f32_16x16x16f16 a[36+0:39+0], v[vgprValuA_X0_I0+0+2+0:vgprValuA_X0_I0+0+2+0+1], v[vgprValuB_X0_I0+4+2+0:vgprValuB_X0_I0+4+2+0+1], a[36:39]
/*  mfmaIndex:54  */
/* localReadsVacancy: latencyLeft 5 */
s_add_u32 s[sgprSrdB+0], s[sgprSrdB+0], s56        // gra SRD += inc(lower)
s_addc_u32  s[sgprSrdB+1], s[sgprSrdB+1], s57      // gra SRD += inc(upper)
s_sub_u32 s[sgprShadowLimitB+0], s[sgprShadowLimitB+0], s56 // limit -= inc)
v_mfma_f32_16x16x16f16 a[72+0:75+0], v[vgprValuA_X0_I0+0+2+0:vgprValuA_X0_I0+0+2+0+1], v[vgprValuB_X0_I0+8+2+0:vgprValuB_X0_I0+8+2+0+1], a[72:75]
/*  mfmaIndex:55  */
/* localReadsVacancy: latencyLeft 5 */
s_subb_u32 s[sgprShadowLimitB+1], s[sgprShadowLimitB+1], s57 // limit -= inc)
s_cmp_eq_u32 s[sgprShadowLimitB+1], 0              // are we within 2^32?
s_cselect_b32 s[sgprSrdB+2], s[sgprShadowLimitB+0], BufferLimitB // Move shadow to real if we are within 2^32
v_mfma_f32_16x16x16f16 a[76+0:79+0], v[vgprValuA_X0_I0+4+2+0:vgprValuA_X0_I0+4+2+0+1], v[vgprValuB_X0_I0+8+2+0:vgprValuB_X0_I0+8+2+0+1], a[76:79]
/*  mfmaIndex:56  */
/* localReadsVacancy: latencyLeft 5 */
v_mfma_f32_16x16x16f16 a[80+0:83+0], v[vgprValuA_X0_I0+8+2+0:vgprValuA_X0_I0+8+2+0+1], v[vgprValuB_X0_I0+8+2+0:vgprValuB_X0_I0+8+2+0+1], a[80:83]
/*  mfmaIndex:57  */
/* localReadsVacancy: latencyLeft 5 */
	;; [unrolled: 3-line block ×16, first 2 shown]
v_mfma_f32_16x16x16f16 a[108+0:111+0], v[vgprValuA_X0_I0+0+2+0:vgprValuA_X0_I0+0+2+0+1], v[vgprValuB_X0_I0+12+2+0:vgprValuB_X0_I0+12+2+0+1], a[108:111]
/* numPrefetchIter=0 */
/* dataAtIterA=-1 numReadsIterA=1 skipReadsIterA=1 readsPerIterA=9 */
/* dataAtIterB=-1 numReadsIterB=1 skipReadsIterB=1 readsPerIterB=4 */


/* iter 2 (reset local read pointers iteration)  (swap local read pointers iteration)  */

/*  grEndMfmaIndex:49, lwStartMfmaIndex:74, lwEndMfmaIndex:123  */
/*  numMfmaForLR:17, barrierMfmaIndex:126 */
/*  mfmaIndex:72  */
/* localReadsVacancy: latencyLeft 5 */
s_waitcnt lgkmcnt(0)                               // lgkmcnt=0 vmcnt=-1wait for prior local read local write old=0, new=0 newLW=0 newLR=0
v_mfma_f32_16x16x16f16 a[0+0:3+0], v[vgprValuA_X2_I0+0+0+0:vgprValuA_X2_I0+0+0+0+1], v[vgprValuB_X2_I0+0+0+0:vgprValuB_X2_I0+0+0+0+1], a[0:3]
/*  mfmaIndex:73  */
/* localReadsVacancy: latencyLeft 5 */
/* 1 LDS buffer: read-sync-write */
s_waitcnt lgkmcnt(0)                               // 
s_barrier                                          // 
v_mfma_f32_16x16x16f16 a[4+0:7+0], v[vgprValuA_X2_I0+4+0+0:vgprValuA_X2_I0+4+0+0+1], v[vgprValuB_X2_I0+0+0+0:vgprValuB_X2_I0+0+0+0+1], a[4:7]
/*  mfmaIndex:74  */
/* localReadsVacancy: latencyLeft 1 */
/* sched write - iter 2 writesPerItem=1 */
s_waitcnt vmcnt(0)                                 // lgkmcnt=-1 vmcnt=0wait for global read before writing to local
_ds_store_b32 v[vgprLocalWriteAddrA], v[vgprG2LA+0] offset:0 // lwoA_0_0_0_0 = (0*LSCA)*(MT0I+PAD) + (0*LSPA) = 0
v_mfma_f32_16x16x16f16 a[8+0:11+0], v[vgprValuA_X2_I0+8+0+0:vgprValuA_X2_I0+8+0+0+1], v[vgprValuB_X2_I0+0+0+0:vgprValuB_X2_I0+0+0+0+1], a[8:11]
/*  mfmaIndex:75  */
/* sched write - iter 2 writesPerItem=1 */
s_waitcnt vmcnt(0)                                 // lgkmcnt=-1 vmcnt=0wait for global read before writing to local
_ds_store_b32 v[vgprLocalWriteAddrA], v[vgprG2LA+1] offset:320 // lwoA_0_0_1_0 = (0*LSCA)*(MT0I+PAD) + (1*LSPA) = 320
v_mfma_f32_16x16x16f16 a[12+0:15+0], v[vgprValuA_X2_I0+12+0+0:vgprValuA_X2_I0+12+0+0+1], v[vgprValuB_X2_I0+0+0+0:vgprValuB_X2_I0+0+0+0+1], a[12:15]
/*  mfmaIndex:76  */
/* sched write - iter 2 writesPerItem=1 */
s_waitcnt vmcnt(0)                                 // lgkmcnt=-1 vmcnt=0wait for global read before writing to local
_ds_store_b32 v[vgprLocalWriteAddrA], v[vgprG2LA+2] offset:640 // lwoA_0_0_2_0 = (0*LSCA)*(MT0I+PAD) + (2*LSPA) = 640
v_mfma_f32_16x16x16f16 a[16+0:19+0], v[vgprValuA_X2_I0+16+0+0:vgprValuA_X2_I0+16+0+0+1], v[vgprValuB_X2_I0+0+0+0:vgprValuB_X2_I0+0+0+0+1], a[16:19]
/*  mfmaIndex:77  */
/* sched write - iter 2 writesPerItem=1 */
s_waitcnt vmcnt(0)                                 // lgkmcnt=-1 vmcnt=0wait for global read before writing to local
_ds_store_b32 v[vgprLocalWriteAddrA], v[vgprG2LA+3] offset:960 // lwoA_0_0_3_0 = (0*LSCA)*(MT0I+PAD) + (3*LSPA) = 960
v_mfma_f32_16x16x16f16 a[20+0:23+0], v[vgprValuA_X2_I0+20+0+0:vgprValuA_X2_I0+20+0+0+1], v[vgprValuB_X2_I0+0+0+0:vgprValuB_X2_I0+0+0+0+1], a[20:23]
/*  mfmaIndex:78  */
/* sched write - iter 2 writesPerItem=1 */
s_waitcnt vmcnt(0)                                 // lgkmcnt=-1 vmcnt=0wait for global read before writing to local
_ds_store_b32 v[vgprLocalWriteAddrA], v[vgprG2LA+4] offset:1280 // lwoA_0_0_4_0 = (0*LSCA)*(MT0I+PAD) + (4*LSPA) = 1280
v_mfma_f32_16x16x16f16 a[24+0:27+0], v[vgprValuA_X2_I0+24+0+0:vgprValuA_X2_I0+24+0+0+1], v[vgprValuB_X2_I0+0+0+0:vgprValuB_X2_I0+0+0+0+1], a[24:27]
/*  mfmaIndex:79  */
/* sched write - iter 2 writesPerItem=1 */
s_waitcnt vmcnt(0)                                 // lgkmcnt=-1 vmcnt=0wait for global read before writing to local
_ds_store_b32 v[vgprLocalWriteAddrA], v[vgprG2LA+5] offset:1600 // lwoA_0_0_5_0 = (0*LSCA)*(MT0I+PAD) + (5*LSPA) = 1600
v_mfma_f32_16x16x16f16 a[28+0:31+0], v[vgprValuA_X2_I0+28+0+0:vgprValuA_X2_I0+28+0+0+1], v[vgprValuB_X2_I0+0+0+0:vgprValuB_X2_I0+0+0+0+1], a[28:31]
/*  mfmaIndex:80  */
/* sched write - iter 2 writesPerItem=1 */
s_waitcnt vmcnt(0)                                 // lgkmcnt=-1 vmcnt=0wait for global read before writing to local
_ds_store_b32 v[vgprLocalWriteAddrA], v[vgprG2LA+6] offset:1920 // lwoA_0_0_6_0 = (0*LSCA)*(MT0I+PAD) + (6*LSPA) = 1920
v_mfma_f32_16x16x16f16 a[32+0:35+0], v[vgprValuA_X2_I0+32+0+0:vgprValuA_X2_I0+32+0+0+1], v[vgprValuB_X2_I0+0+0+0:vgprValuB_X2_I0+0+0+0+1], a[32:35]
/*  mfmaIndex:81  */
/* sched write - iter 2 writesPerItem=1 */
s_waitcnt vmcnt(0)                                 // lgkmcnt=-1 vmcnt=0wait for global read before writing to local
_ds_store_b32 v[vgprLocalWriteAddrA], v[vgprG2LA+7] offset:2240 // lwoA_0_0_7_0 = (0*LSCA)*(MT0I+PAD) + (7*LSPA) = 2240
v_mfma_f32_16x16x16f16 a[68+0:71+0], v[vgprValuA_X2_I0+32+0+0:vgprValuA_X2_I0+32+0+0+1], v[vgprValuB_X2_I0+4+0+0:vgprValuB_X2_I0+4+0+0+1], a[68:71]
/*  mfmaIndex:82  */
/* sched write - iter 2 writesPerItem=1 */
s_waitcnt vmcnt(0)                                 // lgkmcnt=-1 vmcnt=0wait for global read before writing to local
_ds_store_b32 v[vgprLocalWriteAddrA], v[vgprG2LA+8] offset:2560 // lwoA_0_0_8_0 = (0*LSCA)*(MT0I+PAD) + (8*LSPA) = 2560
v_mfma_f32_16x16x16f16 a[64+0:67+0], v[vgprValuA_X2_I0+28+0+0:vgprValuA_X2_I0+28+0+0+1], v[vgprValuB_X2_I0+4+0+0:vgprValuB_X2_I0+4+0+0+1], a[64:67]
/*  mfmaIndex:83  */
/* sched write - iter 2 writesPerItem=1 */
s_waitcnt vmcnt(0)                                 // lgkmcnt=-1 vmcnt=0wait for global read before writing to local
_ds_store_b32 v[vgprLocalWriteAddrA], v[vgprG2LA+9] offset:2880 // lwoA_0_0_9_0 = (0*LSCA)*(MT0I+PAD) + (9*LSPA) = 2880
v_mfma_f32_16x16x16f16 a[60+0:63+0], v[vgprValuA_X2_I0+24+0+0:vgprValuA_X2_I0+24+0+0+1], v[vgprValuB_X2_I0+4+0+0:vgprValuB_X2_I0+4+0+0+1], a[60:63]
/*  mfmaIndex:84  */
/* sched write - iter 2 writesPerItem=1 */
s_waitcnt vmcnt(0)                                 // lgkmcnt=-1 vmcnt=0wait for global read before writing to local
_ds_store_b32 v[vgprLocalWriteAddrA], v[vgprG2LA+10] offset:3200 // lwoA_0_0_10_0 = (0*LSCA)*(MT0I+PAD) + (10*LSPA) = 3200
v_mfma_f32_16x16x16f16 a[56+0:59+0], v[vgprValuA_X2_I0+20+0+0:vgprValuA_X2_I0+20+0+0+1], v[vgprValuB_X2_I0+4+0+0:vgprValuB_X2_I0+4+0+0+1], a[56:59]
/*  mfmaIndex:85  */
/* sched write - iter 2 writesPerItem=1 */
s_waitcnt vmcnt(0)                                 // lgkmcnt=-1 vmcnt=0wait for global read before writing to local
_ds_store_b32 v[vgprLocalWriteAddrA], v[vgprG2LA+11] offset:3520 // lwoA_0_0_11_0 = (0*LSCA)*(MT0I+PAD) + (11*LSPA) = 3520
v_mfma_f32_16x16x16f16 a[52+0:55+0], v[vgprValuA_X2_I0+16+0+0:vgprValuA_X2_I0+16+0+0+1], v[vgprValuB_X2_I0+4+0+0:vgprValuB_X2_I0+4+0+0+1], a[52:55]
/*  mfmaIndex:86  */
/* sched write - iter 2 writesPerItem=1 */
s_waitcnt vmcnt(0)                                 // lgkmcnt=-1 vmcnt=0wait for global read before writing to local
_ds_store_b32 v[vgprLocalWriteAddrA], v[vgprG2LA+12] offset:3840 // lwoA_0_0_12_0 = (0*LSCA)*(MT0I+PAD) + (12*LSPA) = 3840
v_mfma_f32_16x16x16f16 a[48+0:51+0], v[vgprValuA_X2_I0+12+0+0:vgprValuA_X2_I0+12+0+0+1], v[vgprValuB_X2_I0+4+0+0:vgprValuB_X2_I0+4+0+0+1], a[48:51]
/*  mfmaIndex:87  */
/* sched write - iter 2 writesPerItem=1 */
s_waitcnt vmcnt(0)                                 // lgkmcnt=-1 vmcnt=0wait for global read before writing to local
_ds_store_b32 v[vgprLocalWriteAddrA], v[vgprG2LA+13] offset:4160 // lwoA_0_0_13_0 = (0*LSCA)*(MT0I+PAD) + (13*LSPA) = 4160
v_mfma_f32_16x16x16f16 a[44+0:47+0], v[vgprValuA_X2_I0+8+0+0:vgprValuA_X2_I0+8+0+0+1], v[vgprValuB_X2_I0+4+0+0:vgprValuB_X2_I0+4+0+0+1], a[44:47]
/*  mfmaIndex:88  */
/* sched write - iter 2 writesPerItem=1 */
s_waitcnt vmcnt(0)                                 // lgkmcnt=-1 vmcnt=0wait for global read before writing to local
_ds_store_b32 v[vgprLocalWriteAddrA], v[vgprG2LA+14] offset:4480 // lwoA_0_0_14_0 = (0*LSCA)*(MT0I+PAD) + (14*LSPA) = 4480
v_mfma_f32_16x16x16f16 a[40+0:43+0], v[vgprValuA_X2_I0+4+0+0:vgprValuA_X2_I0+4+0+0+1], v[vgprValuB_X2_I0+4+0+0:vgprValuB_X2_I0+4+0+0+1], a[40:43]
/*  mfmaIndex:89  */
/* sched write - iter 2 writesPerItem=1 */
s_waitcnt vmcnt(0)                                 // lgkmcnt=-1 vmcnt=0wait for global read before writing to local
_ds_store_b32 v[vgprLocalWriteAddrA], v[vgprG2LA+15] offset:4800 // lwoA_0_0_15_0 = (0*LSCA)*(MT0I+PAD) + (15*LSPA) = 4800
v_mfma_f32_16x16x16f16 a[36+0:39+0], v[vgprValuA_X2_I0+0+0+0:vgprValuA_X2_I0+0+0+0+1], v[vgprValuB_X2_I0+4+0+0:vgprValuB_X2_I0+4+0+0+1], a[36:39]
/*  mfmaIndex:90  */
/* sched write - iter 2 writesPerItem=1 */
s_waitcnt vmcnt(0)                                 // lgkmcnt=-1 vmcnt=0wait for global read before writing to local
_ds_store_b32 v[vgprLocalWriteAddrA], v[vgprG2LA+16] offset:5120 // lwoA_0_0_16_0 = (0*LSCA)*(MT0I+PAD) + (16*LSPA) = 5120
v_mfma_f32_16x16x16f16 a[72+0:75+0], v[vgprValuA_X2_I0+0+0+0:vgprValuA_X2_I0+0+0+0+1], v[vgprValuB_X2_I0+8+0+0:vgprValuB_X2_I0+8+0+0+1], a[72:75]
/*  mfmaIndex:91  */
/* sched write - iter 2 writesPerItem=1 */
s_waitcnt vmcnt(0)                                 // lgkmcnt=-1 vmcnt=0wait for global read before writing to local
_ds_store_b32 v[vgprLocalWriteAddrA], v[vgprG2LA+17] offset:5440 // lwoA_0_0_17_0 = (0*LSCA)*(MT0I+PAD) + (17*LSPA) = 5440
v_mfma_f32_16x16x16f16 a[76+0:79+0], v[vgprValuA_X2_I0+4+0+0:vgprValuA_X2_I0+4+0+0+1], v[vgprValuB_X2_I0+8+0+0:vgprValuB_X2_I0+8+0+0+1], a[76:79]
/*  mfmaIndex:92  */
/* sched write - iter 2 writesPerItem=1 */
s_waitcnt vmcnt(0)                                 // lgkmcnt=-1 vmcnt=0wait for global read before writing to local
_ds_store_b32 v[vgprLocalWriteAddrB], v[vgprG2LB+0] offset:0 // lwoB_0_0_0_0 = (0*LSCB)*(MT1J+PAD) + (0*LSPB) = 0
v_mfma_f32_16x16x16f16 a[80+0:83+0], v[vgprValuA_X2_I0+8+0+0:vgprValuA_X2_I0+8+0+0+1], v[vgprValuB_X2_I0+8+0+0:vgprValuB_X2_I0+8+0+0+1], a[80:83]
/*  mfmaIndex:93  */
/* sched write - iter 2 writesPerItem=1 */
s_waitcnt vmcnt(0)                                 // lgkmcnt=-1 vmcnt=0wait for global read before writing to local
_ds_store_b32 v[vgprLocalWriteAddrB], v[vgprG2LB+1] offset:320 // lwoB_0_0_1_0 = (0*LSCB)*(MT1J+PAD) + (1*LSPB) = 320
v_mfma_f32_16x16x16f16 a[84+0:87+0], v[vgprValuA_X2_I0+12+0+0:vgprValuA_X2_I0+12+0+0+1], v[vgprValuB_X2_I0+8+0+0:vgprValuB_X2_I0+8+0+0+1], a[84:87]
/*  mfmaIndex:94  */
/* sched write - iter 2 writesPerItem=1 */
s_waitcnt vmcnt(0)                                 // lgkmcnt=-1 vmcnt=0wait for global read before writing to local
_ds_store_b32 v[vgprLocalWriteAddrB], v[vgprG2LB+2] offset:640 // lwoB_0_0_2_0 = (0*LSCB)*(MT1J+PAD) + (2*LSPB) = 640
v_mfma_f32_16x16x16f16 a[88+0:91+0], v[vgprValuA_X2_I0+16+0+0:vgprValuA_X2_I0+16+0+0+1], v[vgprValuB_X2_I0+8+0+0:vgprValuB_X2_I0+8+0+0+1], a[88:91]
/*  mfmaIndex:95  */
/* sched write - iter 2 writesPerItem=1 */
s_waitcnt vmcnt(0)                                 // lgkmcnt=-1 vmcnt=0wait for global read before writing to local
_ds_store_b32 v[vgprLocalWriteAddrB], v[vgprG2LB+3] offset:960 // lwoB_0_0_3_0 = (0*LSCB)*(MT1J+PAD) + (3*LSPB) = 960
v_mfma_f32_16x16x16f16 a[92+0:95+0], v[vgprValuA_X2_I0+20+0+0:vgprValuA_X2_I0+20+0+0+1], v[vgprValuB_X2_I0+8+0+0:vgprValuB_X2_I0+8+0+0+1], a[92:95]
/*  mfmaIndex:96  */
/* sched write - iter 2 writesPerItem=1 */
s_waitcnt vmcnt(0)                                 // lgkmcnt=-1 vmcnt=0wait for global read before writing to local
_ds_store_b32 v[vgprLocalWriteAddrB], v[vgprG2LB+4] offset:1280 // lwoB_0_0_4_0 = (0*LSCB)*(MT1J+PAD) + (4*LSPB) = 1280
v_mfma_f32_16x16x16f16 a[96+0:99+0], v[vgprValuA_X2_I0+24+0+0:vgprValuA_X2_I0+24+0+0+1], v[vgprValuB_X2_I0+8+0+0:vgprValuB_X2_I0+8+0+0+1], a[96:99]
/*  mfmaIndex:97  */
/* sched write - iter 2 writesPerItem=1 */
s_waitcnt vmcnt(0)                                 // lgkmcnt=-1 vmcnt=0wait for global read before writing to local
_ds_store_b32 v[vgprLocalWriteAddrB], v[vgprG2LB+5] offset:1600 // lwoB_0_0_5_0 = (0*LSCB)*(MT1J+PAD) + (5*LSPB) = 1600
v_mfma_f32_16x16x16f16 a[100+0:103+0], v[vgprValuA_X2_I0+28+0+0:vgprValuA_X2_I0+28+0+0+1], v[vgprValuB_X2_I0+8+0+0:vgprValuB_X2_I0+8+0+0+1], a[100:103]
/*  mfmaIndex:98  */
/* sched write - iter 2 writesPerItem=1 */
s_waitcnt vmcnt(0)                                 // lgkmcnt=-1 vmcnt=0wait for global read before writing to local
_ds_store_b32 v[vgprLocalWriteAddrB], v[vgprG2LB+6] offset:1920 // lwoB_0_0_6_0 = (0*LSCB)*(MT1J+PAD) + (6*LSPB) = 1920
v_mfma_f32_16x16x16f16 a[104+0:107+0], v[vgprValuA_X2_I0+32+0+0:vgprValuA_X2_I0+32+0+0+1], v[vgprValuB_X2_I0+8+0+0:vgprValuB_X2_I0+8+0+0+1], a[104:107]
/*  mfmaIndex:99  */
/* sched write - iter 2 writesPerItem=1 */
s_waitcnt vmcnt(0)                                 // lgkmcnt=-1 vmcnt=0wait for global read before writing to local
_ds_store_b32 v[vgprLocalWriteAddrB], v[vgprG2LB+7] offset:2240 // lwoB_0_0_7_0 = (0*LSCB)*(MT1J+PAD) + (7*LSPB) = 2240
v_mfma_f32_16x16x16f16 a[140+0:143+0], v[vgprValuA_X2_I0+32+0+0:vgprValuA_X2_I0+32+0+0+1], v[vgprValuB_X2_I0+12+0+0:vgprValuB_X2_I0+12+0+0+1], a[140:143]
/*  mfmaIndex:100  */
/* sched write - iter 2 writesPerItem=1 */
s_waitcnt vmcnt(0)                                 // lgkmcnt=-1 vmcnt=0wait for global read before writing to local
_ds_store_b32 v[vgprLocalWriteAddrB], v[vgprG2LB+8] offset:2560 // lwoB_0_0_8_0 = (0*LSCB)*(MT1J+PAD) + (8*LSPB) = 2560
v_mfma_f32_16x16x16f16 a[136+0:139+0], v[vgprValuA_X2_I0+28+0+0:vgprValuA_X2_I0+28+0+0+1], v[vgprValuB_X2_I0+12+0+0:vgprValuB_X2_I0+12+0+0+1], a[136:139]
/*  mfmaIndex:101  */
/* sched write - iter 2 writesPerItem=1 */
s_waitcnt vmcnt(0)                                 // lgkmcnt=-1 vmcnt=0wait for global read before writing to local
_ds_store_b32 v[vgprLocalWriteAddrB], v[vgprG2LB+9] offset:2880 // lwoB_0_0_9_0 = (0*LSCB)*(MT1J+PAD) + (9*LSPB) = 2880
v_mfma_f32_16x16x16f16 a[132+0:135+0], v[vgprValuA_X2_I0+24+0+0:vgprValuA_X2_I0+24+0+0+1], v[vgprValuB_X2_I0+12+0+0:vgprValuB_X2_I0+12+0+0+1], a[132:135]
/*  mfmaIndex:102  */
/* sched write - iter 2 writesPerItem=1 */
s_waitcnt vmcnt(0)                                 // lgkmcnt=-1 vmcnt=0wait for global read before writing to local
_ds_store_b32 v[vgprLocalWriteAddrB], v[vgprG2LB+10] offset:3200 // lwoB_0_0_10_0 = (0*LSCB)*(MT1J+PAD) + (10*LSPB) = 3200
v_mfma_f32_16x16x16f16 a[128+0:131+0], v[vgprValuA_X2_I0+20+0+0:vgprValuA_X2_I0+20+0+0+1], v[vgprValuB_X2_I0+12+0+0:vgprValuB_X2_I0+12+0+0+1], a[128:131]
/*  mfmaIndex:103  */
/* sched write - iter 2 writesPerItem=1 */
s_waitcnt vmcnt(0)                                 // lgkmcnt=-1 vmcnt=0wait for global read before writing to local
_ds_store_b32 v[vgprLocalWriteAddrB], v[vgprG2LB+11] offset:3520 // lwoB_0_0_11_0 = (0*LSCB)*(MT1J+PAD) + (11*LSPB) = 3520
v_mfma_f32_16x16x16f16 a[124+0:127+0], v[vgprValuA_X2_I0+16+0+0:vgprValuA_X2_I0+16+0+0+1], v[vgprValuB_X2_I0+12+0+0:vgprValuB_X2_I0+12+0+0+1], a[124:127]
/*  mfmaIndex:104  */
/* sched write - iter 2 writesPerItem=1 */
s_waitcnt vmcnt(0)                                 // lgkmcnt=-1 vmcnt=0wait for global read before writing to local
_ds_store_b32 v[vgprLocalWriteAddrB], v[vgprG2LB+12] offset:3840 // lwoB_0_0_12_0 = (0*LSCB)*(MT1J+PAD) + (12*LSPB) = 3840
v_mfma_f32_16x16x16f16 a[120+0:123+0], v[vgprValuA_X2_I0+12+0+0:vgprValuA_X2_I0+12+0+0+1], v[vgprValuB_X2_I0+12+0+0:vgprValuB_X2_I0+12+0+0+1], a[120:123]
/*  mfmaIndex:105  */
/* sched write - iter 2 writesPerItem=1 */
s_waitcnt vmcnt(0)                                 // lgkmcnt=-1 vmcnt=0wait for global read before writing to local
_ds_store_b32 v[vgprLocalWriteAddrB], v[vgprG2LB+13] offset:4160 // lwoB_0_0_13_0 = (0*LSCB)*(MT1J+PAD) + (13*LSPB) = 4160
v_mfma_f32_16x16x16f16 a[116+0:119+0], v[vgprValuA_X2_I0+8+0+0:vgprValuA_X2_I0+8+0+0+1], v[vgprValuB_X2_I0+12+0+0:vgprValuB_X2_I0+12+0+0+1], a[116:119]
/*  mfmaIndex:106  */
/* sched write - iter 2 writesPerItem=1 */
s_waitcnt vmcnt(0)                                 // lgkmcnt=-1 vmcnt=0wait for global read before writing to local
_ds_store_b32 v[vgprLocalWriteAddrB], v[vgprG2LB+14] offset:4480 // lwoB_0_0_14_0 = (0*LSCB)*(MT1J+PAD) + (14*LSPB) = 4480
v_mfma_f32_16x16x16f16 a[112+0:115+0], v[vgprValuA_X2_I0+4+0+0:vgprValuA_X2_I0+4+0+0+1], v[vgprValuB_X2_I0+12+0+0:vgprValuB_X2_I0+12+0+0+1], a[112:115]
/*  mfmaIndex:107  */
/* sched write - iter 2 writesPerItem=1 */
s_waitcnt vmcnt(0)                                 // lgkmcnt=-1 vmcnt=0wait for global read before writing to local
_ds_store_b32 v[vgprLocalWriteAddrB], v[vgprG2LB+15] offset:4800 // lwoB_0_0_15_0 = (0*LSCB)*(MT1J+PAD) + (15*LSPB) = 4800

/* local read swap offsets a */

/* local read swap offsets b */

/* local read init pointers a */

/* localReadInitPointers */

/* local read init pointers b */

/* localReadInitPointers */
v_mfma_f32_16x16x16f16 a[108+0:111+0], v[vgprValuA_X2_I0+0+0+0:vgprValuA_X2_I0+0+0+0+1], v[vgprValuB_X2_I0+12+0+0:vgprValuB_X2_I0+12+0+0+1], a[108:111]
/* numPrefetchIter=0 */
/* dataAtIterA=0 numReadsIterA=1 skipReadsIterA=0 readsPerIterA=9 */
/* dataAtIterB=0 numReadsIterB=1 skipReadsIterB=0 readsPerIterB=4 */


/* iter 3 (swap and reset local write pointers iteration)  */

/*  grEndMfmaIndex:49, lwStartMfmaIndex:74, lwEndMfmaIndex:123  */
/*  numMfmaForLR:17, barrierMfmaIndex:126 */
/*  mfmaIndex:108  */
/* sched write - iter 3 writesPerItem=1 */
s_waitcnt vmcnt(0)                                 // lgkmcnt=-1 vmcnt=0wait for global read before writing to local
_ds_store_b32 v[vgprLocalWriteAddrB], v[vgprG2LB+16] offset:5120 // lwoB_0_0_16_0 = (0*LSCB)*(MT1J+PAD) + (16*LSPB) = 5120
v_mfma_f32_16x16x16f16 a[0+0:3+0], v[vgprValuA_X2_I0+0+2+0:vgprValuA_X2_I0+0+2+0+1], v[vgprValuB_X2_I0+0+2+0:vgprValuB_X2_I0+0+2+0+1], a[0:3]
/*  mfmaIndex:109  */
/* sched write - iter 3 writesPerItem=1 */
s_waitcnt vmcnt(0)                                 // lgkmcnt=-1 vmcnt=0wait for global read before writing to local
_ds_store_b32 v[vgprLocalWriteAddrB], v[vgprG2LB+17] offset:5440 // lwoB_0_0_17_0 = (0*LSCB)*(MT1J+PAD) + (17*LSPB) = 5440
v_mfma_f32_16x16x16f16 a[4+0:7+0], v[vgprValuA_X2_I0+4+2+0:vgprValuA_X2_I0+4+2+0+1], v[vgprValuB_X2_I0+0+2+0:vgprValuB_X2_I0+0+2+0+1], a[4:7]
/*  mfmaIndex:110  */
/* sched write - iter 3 writesPerItem=1 */
s_waitcnt vmcnt(0)                                 // lgkmcnt=-1 vmcnt=0wait for global read before writing to local
_ds_store_b32 v[vgprLocalWriteAddrB], v[vgprG2LB+18] offset:5760 // lwoB_0_0_18_0 = (0*LSCB)*(MT1J+PAD) + (18*LSPB) = 5760
v_mfma_f32_16x16x16f16 a[8+0:11+0], v[vgprValuA_X2_I0+8+2+0:vgprValuA_X2_I0+8+2+0+1], v[vgprValuB_X2_I0+0+2+0:vgprValuB_X2_I0+0+2+0+1], a[8:11]
/*  mfmaIndex:111  */
/* sched write - iter 3 writesPerItem=1 */
s_waitcnt vmcnt(0)                                 // lgkmcnt=-1 vmcnt=0wait for global read before writing to local
_ds_store_b32 v[vgprLocalWriteAddrB], v[vgprG2LB+19] offset:6080 // lwoB_0_0_19_0 = (0*LSCB)*(MT1J+PAD) + (19*LSPB) = 6080
v_mfma_f32_16x16x16f16 a[12+0:15+0], v[vgprValuA_X2_I0+12+2+0:vgprValuA_X2_I0+12+2+0+1], v[vgprValuB_X2_I0+0+2+0:vgprValuB_X2_I0+0+2+0+1], a[12:15]
/*  mfmaIndex:112  */
/* sched write - iter 3 writesPerItem=1 */
s_waitcnt vmcnt(0)                                 // lgkmcnt=-1 vmcnt=0wait for global read before writing to local
_ds_store_b32 v[vgprLocalWriteAddrB], v[vgprG2LB+20] offset:6400 // lwoB_0_0_20_0 = (0*LSCB)*(MT1J+PAD) + (20*LSPB) = 6400
v_mfma_f32_16x16x16f16 a[16+0:19+0], v[vgprValuA_X2_I0+16+2+0:vgprValuA_X2_I0+16+2+0+1], v[vgprValuB_X2_I0+0+2+0:vgprValuB_X2_I0+0+2+0+1], a[16:19]
/*  mfmaIndex:113  */
/* sched write - iter 3 writesPerItem=1 */
s_waitcnt vmcnt(0)                                 // lgkmcnt=-1 vmcnt=0wait for global read before writing to local
_ds_store_b32 v[vgprLocalWriteAddrB], v[vgprG2LB+21] offset:6720 // lwoB_0_0_21_0 = (0*LSCB)*(MT1J+PAD) + (21*LSPB) = 6720
v_mfma_f32_16x16x16f16 a[20+0:23+0], v[vgprValuA_X2_I0+20+2+0:vgprValuA_X2_I0+20+2+0+1], v[vgprValuB_X2_I0+0+2+0:vgprValuB_X2_I0+0+2+0+1], a[20:23]
/*  mfmaIndex:114  */
/* sched write - iter 3 writesPerItem=1 */
s_waitcnt vmcnt(0)                                 // lgkmcnt=-1 vmcnt=0wait for global read before writing to local
_ds_store_b32 v[vgprLocalWriteAddrB], v[vgprG2LB+22] offset:7040 // lwoB_0_0_22_0 = (0*LSCB)*(MT1J+PAD) + (22*LSPB) = 7040
v_mfma_f32_16x16x16f16 a[24+0:27+0], v[vgprValuA_X2_I0+24+2+0:vgprValuA_X2_I0+24+2+0+1], v[vgprValuB_X2_I0+0+2+0:vgprValuB_X2_I0+0+2+0+1], a[24:27]
/*  mfmaIndex:115  */
/* sched write - iter 3 writesPerItem=1 */
s_waitcnt vmcnt(0)                                 // lgkmcnt=-1 vmcnt=0wait for global read before writing to local
_ds_store_b32 v[vgprLocalWriteAddrB], v[vgprG2LB+23] offset:7360 // lwoB_0_0_23_0 = (0*LSCB)*(MT1J+PAD) + (23*LSPB) = 7360
v_mfma_f32_16x16x16f16 a[28+0:31+0], v[vgprValuA_X2_I0+28+2+0:vgprValuA_X2_I0+28+2+0+1], v[vgprValuB_X2_I0+0+2+0:vgprValuB_X2_I0+0+2+0+1], a[28:31]
/*  mfmaIndex:116  */
/* sched write - iter 3 writesPerItem=1 */
s_waitcnt vmcnt(0)                                 // lgkmcnt=-1 vmcnt=0wait for global read before writing to local
_ds_store_b32 v[vgprLocalWriteAddrB], v[vgprG2LB+24] offset:7680 // lwoB_0_0_24_0 = (0*LSCB)*(MT1J+PAD) + (24*LSPB) = 7680
v_mfma_f32_16x16x16f16 a[32+0:35+0], v[vgprValuA_X2_I0+32+2+0:vgprValuA_X2_I0+32+2+0+1], v[vgprValuB_X2_I0+0+2+0:vgprValuB_X2_I0+0+2+0+1], a[32:35]
/*  mfmaIndex:117  */
/* sched write - iter 3 writesPerItem=1 */
s_waitcnt vmcnt(0)                                 // lgkmcnt=-1 vmcnt=0wait for global read before writing to local
_ds_store_b32 v[vgprLocalWriteAddrB], v[vgprG2LB+25] offset:8000 // lwoB_0_0_25_0 = (0*LSCB)*(MT1J+PAD) + (25*LSPB) = 8000
v_mfma_f32_16x16x16f16 a[68+0:71+0], v[vgprValuA_X2_I0+32+2+0:vgprValuA_X2_I0+32+2+0+1], v[vgprValuB_X2_I0+4+2+0:vgprValuB_X2_I0+4+2+0+1], a[68:71]
/*  mfmaIndex:118  */
/* sched write - iter 3 writesPerItem=1 */
s_waitcnt vmcnt(0)                                 // lgkmcnt=-1 vmcnt=0wait for global read before writing to local
_ds_store_b32 v[vgprLocalWriteAddrB], v[vgprG2LB+26] offset:8320 // lwoB_0_0_26_0 = (0*LSCB)*(MT1J+PAD) + (26*LSPB) = 8320
v_mfma_f32_16x16x16f16 a[64+0:67+0], v[vgprValuA_X2_I0+28+2+0:vgprValuA_X2_I0+28+2+0+1], v[vgprValuB_X2_I0+4+2+0:vgprValuB_X2_I0+4+2+0+1], a[64:67]
/*  mfmaIndex:119  */
/* sched write - iter 3 writesPerItem=1 */
s_waitcnt vmcnt(0)                                 // lgkmcnt=-1 vmcnt=0wait for global read before writing to local
_ds_store_b32 v[vgprLocalWriteAddrB], v[vgprG2LB+27] offset:8640 // lwoB_0_0_27_0 = (0*LSCB)*(MT1J+PAD) + (27*LSPB) = 8640
v_mfma_f32_16x16x16f16 a[60+0:63+0], v[vgprValuA_X2_I0+24+2+0:vgprValuA_X2_I0+24+2+0+1], v[vgprValuB_X2_I0+4+2+0:vgprValuB_X2_I0+4+2+0+1], a[60:63]
/*  mfmaIndex:120  */
/* sched write - iter 3 writesPerItem=1 */
s_waitcnt vmcnt(0)                                 // lgkmcnt=-1 vmcnt=0wait for global read before writing to local
_ds_store_b32 v[vgprLocalWriteAddrB], v[vgprG2LB+28] offset:8960 // lwoB_0_0_28_0 = (0*LSCB)*(MT1J+PAD) + (28*LSPB) = 8960
v_mfma_f32_16x16x16f16 a[56+0:59+0], v[vgprValuA_X2_I0+20+2+0:vgprValuA_X2_I0+20+2+0+1], v[vgprValuB_X2_I0+4+2+0:vgprValuB_X2_I0+4+2+0+1], a[56:59]
/*  mfmaIndex:121  */
/* sched write - iter 3 writesPerItem=1 */
s_waitcnt vmcnt(0)                                 // lgkmcnt=-1 vmcnt=0wait for global read before writing to local
_ds_store_b32 v[vgprLocalWriteAddrB], v[vgprG2LB+29] offset:9280 // lwoB_0_0_29_0 = (0*LSCB)*(MT1J+PAD) + (29*LSPB) = 9280
v_mfma_f32_16x16x16f16 a[52+0:55+0], v[vgprValuA_X2_I0+16+2+0:vgprValuA_X2_I0+16+2+0+1], v[vgprValuB_X2_I0+4+2+0:vgprValuB_X2_I0+4+2+0+1], a[52:55]
/*  mfmaIndex:122  */
/* sched write - iter 3 writesPerItem=1 */
s_waitcnt vmcnt(0)                                 // lgkmcnt=-1 vmcnt=0wait for global read before writing to local
_ds_store_b32 v[vgprLocalWriteAddrB], v[vgprG2LB+30] offset:9600 // lwoB_0_0_30_0 = (0*LSCB)*(MT1J+PAD) + (30*LSPB) = 9600
v_mfma_f32_16x16x16f16 a[48+0:51+0], v[vgprValuA_X2_I0+12+2+0:vgprValuA_X2_I0+12+2+0+1], v[vgprValuB_X2_I0+4+2+0:vgprValuB_X2_I0+4+2+0+1], a[48:51]
/*  mfmaIndex:123  */
/* sched write - iter 3 writesPerItem=1 */
s_waitcnt vmcnt(0)                                 // lgkmcnt=-1 vmcnt=0wait for global read before writing to local
_ds_store_b32 v[vgprLocalWriteAddrB], v[vgprG2LB+31] offset:9920 // lwoB_0_0_31_0 = (0*LSCB)*(MT1J+PAD) + (31*LSPB) = 9920

/* local write swap offsets a */

/* local write swap offsets b */
v_mfma_f32_16x16x16f16 a[44+0:47+0], v[vgprValuA_X2_I0+8+2+0:vgprValuA_X2_I0+8+2+0+1], v[vgprValuB_X2_I0+4+2+0:vgprValuB_X2_I0+4+2+0+1], a[44:47]
/*  mfmaIndex:124  */
v_mfma_f32_16x16x16f16 a[40+0:43+0], v[vgprValuA_X2_I0+4+2+0:vgprValuA_X2_I0+4+2+0+1], v[vgprValuB_X2_I0+4+2+0:vgprValuB_X2_I0+4+2+0+1], a[40:43]
/*  mfmaIndex:125  */
	;; [unrolled: 2-line block ×3, first 2 shown]
s_waitcnt lgkmcnt(0)                               // lgkmcnt=0 vmcnt=-13wait for local write
s_waitcnt lgkmcnt(0) & vmcnt(0)                    // force waitcnt0
s_barrier //
v_mfma_f32_16x16x16f16 a[72+0:75+0], v[vgprValuA_X2_I0+0+2+0:vgprValuA_X2_I0+0+2+0+1], v[vgprValuB_X2_I0+8+2+0:vgprValuB_X2_I0+8+2+0+1], a[72:75]
/*  mfmaIndex:127  */
_ds_load_b128 v[vgprValuA_X0_I0+0:vgprValuA_X0_I0+0+3], v[vgprLocalReadAddrA] offset:0 // L -> Reg lro=0 swapByteOffset=0 ti=16 vIdx=0 rIdx=0 oIdx=0 buffer=0 iui=0
v_mfma_f32_16x16x16f16 a[76+0:79+0], v[vgprValuA_X2_I0+4+2+0:vgprValuA_X2_I0+4+2+0+1], v[vgprValuB_X2_I0+8+2+0:vgprValuB_X2_I0+8+2+0+1], a[76:79]
/*  mfmaIndex:128  */
_ds_load_b128 v[vgprValuB_X0_I0+0:vgprValuB_X0_I0+0+3], v[vgprLocalReadAddrB] offset:0 // L -> Reg lro=0 swapByteOffset=0 ti=128 vIdx=0 rIdx=0 oIdx=0 buffer=0 iui=0
v_mfma_f32_16x16x16f16 a[80+0:83+0], v[vgprValuA_X2_I0+8+2+0:vgprValuA_X2_I0+8+2+0+1], v[vgprValuB_X2_I0+8+2+0:vgprValuB_X2_I0+8+2+0+1], a[80:83]
/*  mfmaIndex:129  */
_ds_load_b128 v[vgprValuA_X0_I0+4:vgprValuA_X0_I0+4+3], v[vgprLocalReadAddrA] offset:2560 // L -> Reg lro=0 swapByteOffset=0 ti=16 vIdx=1 rIdx=0 oIdx=0 buffer=0 iui=0
v_mfma_f32_16x16x16f16 a[84+0:87+0], v[vgprValuA_X2_I0+12+2+0:vgprValuA_X2_I0+12+2+0+1], v[vgprValuB_X2_I0+8+2+0:vgprValuB_X2_I0+8+2+0+1], a[84:87]
/*  mfmaIndex:130  */
_ds_load_b128 v[vgprValuA_X0_I0+8:vgprValuA_X0_I0+8+3], v[vgprLocalReadAddrA] offset:5120 // L -> Reg lro=0 swapByteOffset=0 ti=16 vIdx=2 rIdx=0 oIdx=0 buffer=0 iui=0
	;; [unrolled: 3-line block ×8, first 2 shown]
v_mfma_f32_16x16x16f16 a[136+0:139+0], v[vgprValuA_X2_I0+28+2+0:vgprValuA_X2_I0+28+2+0+1], v[vgprValuB_X2_I0+12+2+0:vgprValuB_X2_I0+12+2+0+1], a[136:139]
/*  mfmaIndex:137  */
_ds_load_b128 v[vgprValuB_X0_I0+4:vgprValuB_X0_I0+4+3], v[vgprLocalReadAddrB] offset:160 // L -> Reg lro=0 swapByteOffset=0 ti=128 vIdx=0 rIdx=0 oIdx=0 buffer=0 iui=0
v_mfma_f32_16x16x16f16 a[132+0:135+0], v[vgprValuA_X2_I0+24+2+0:vgprValuA_X2_I0+24+2+0+1], v[vgprValuB_X2_I0+12+2+0:vgprValuB_X2_I0+12+2+0+1], a[132:135]
/*  mfmaIndex:138  */
_ds_load_b128 v[vgprValuB_X0_I0+8:vgprValuB_X0_I0+8+3], v[vgprLocalReadAddrB] offset:20480 // L -> Reg lro=0 swapByteOffset=0 ti=128 vIdx=1 rIdx=0 oIdx=0 buffer=0 iui=0
	;; [unrolled: 3-line block ×3, first 2 shown]
v_mfma_f32_16x16x16f16 a[124+0:127+0], v[vgprValuA_X2_I0+16+2+0:vgprValuA_X2_I0+16+2+0+1], v[vgprValuB_X2_I0+12+2+0:vgprValuB_X2_I0+12+2+0+1], a[124:127]
/*  mfmaIndex:140  */
v_mfma_f32_16x16x16f16 a[120+0:123+0], v[vgprValuA_X2_I0+12+2+0:vgprValuA_X2_I0+12+2+0+1], v[vgprValuB_X2_I0+12+2+0:vgprValuB_X2_I0+12+2+0+1], a[120:123]
/*  mfmaIndex:141  */
	;; [unrolled: 2-line block ×4, first 2 shown]
v_mfma_f32_16x16x16f16 a[108+0:111+0], v[vgprValuA_X2_I0+0+2+0:vgprValuA_X2_I0+0+2+0+1], v[vgprValuB_X2_I0+12+2+0:vgprValuB_X2_I0+12+2+0+1], a[108:111]


/******************************************/
/* Unrolled Loop - End 2/2 (final)        */
/******************************************/


/* closeLoop loopL finalLoop=1 tailLoop=0 */
s_sub_u32 s[sgprLoopCounterL], s[sgprLoopCounterL], 1 // dec counterL
s_cmp_eq_i32 s[sgprLoopCounterL], 0x1              // counterL==1
s_cbranch_scc0 LoopBeginL_1                        // restart LoopL
LoopEndL_evenexit_4: // unroll loop eveniter exit
s_branch LoopEndL_2                                // exit unroll loopL (and skip second exit code)
LoopEndL_oddexit_3: // unroll loop odditer exit

/* Select high bank of LDS */
LoopEndL_2:


/* Before NLL: Check VGPR.checkin for INT8 LW */


/******************************************/
/* Opt. NoLoadLoop Without PAP - Begin                                      */
/******************************************/

s_cmpk_eq_u32 s[sgprBeta], 0x0                     // Beta == 0
s_cbranch_scc0 OptNLL_End_15                       // Branch if Beta is not zero

s_cmp_eq_u32 s[sgprAlpha], 1.0                     // Alpha == 1.0 ?
s_cbranch_scc0 OptNLL_End_15                       // branch if alpha != 1

s_mov_b32 s59, 0x0                                 // STATIC_DIV: divisior=144
s_mul_i32 s58, 0x38e, s[sgprSizeI]                 // tmp1 = dividend * magic hi
s_lshl_b64 s[58:59], s[58:59], 0x10                // left shift 16 bits
s_mul_i32 s57, s[sgprSizeI], 0x38e4                // tmp0 = dividend * magic lo
s_add_u32 s58, s57, s58                            // add lo
s_addc_u32 s59, s59, 0x0                           // add hi
s_lshr_b64 s[58:59], s[58:59], 0x21                // tmp1 = (dividend * magic) << shift
s_mov_b32 s57, s58                                 // quotient
s_mul_i32 s58, s57, 0x90                           // quotient*divisor
s_sub_u32 s56, s[sgprSizeI], s58                   // rReg = dividend - quotient*divisor
s_add_u32 s57, -0x1, s[sgprNumWorkGroups0]         // 
s_cmp_ge_u32 s[sgprWorkGroup0], s57                // wg0 >= nwg0-1 ?
s_cselect_b32 s56, s56, 0                          // set rMT0
s_cmpk_gt_u32 s56, 0x0                             // rMT0 > 0
s_cbranch_scc1 OptNLL_End_15                       // jump if edges required
s_and_b32 s56, 255, s[sgprSizeJ]                   // s56 = s[sgprSizeJ] % 256
s_add_u32 s57, -0x1, s[sgprNumWorkGroups1]         // 
s_cmp_ge_u32 s[sgprWorkGroup1], s57                // wg1 >= nwg1-1
s_cselect_b32 s56, s56, 0                          // set rMT1
s_cmpk_gt_u32 s56, 0x0                             // rMT1 > 0
s_cbranch_scc1 OptNLL_End_15                       // jump if edges required

s_and_b32 s57, 63, s[sgprSizesSum+0]               // s57 = s[sgprSizesSum+0] % 64
s_cmp_eq_u32 s57, 0x0                              // numIterL == 0
s_cbranch_scc0 OptNLL_End_15                       // skip if tail loop required


	;; [unrolled: 1-line block ×3, first 2 shown]
/* iter 0 (last unrolled loop) */

/*  grEndMfmaIndex:0, lwStartMfmaIndex:123, lwEndMfmaIndex:123  */
/*  numMfmaForLR:17, barrierMfmaIndex:126 */
/*  mfmaIndex:0  */
s_waitcnt lgkmcnt(0)                               // lgkmcnt=0 vmcnt=-1wait for prior local read local write old=0, new=0 newLW=0 newLR=0
v_mfma_f32_16x16x16f16 a[0+0:3+0], v[vgprValuA_X0_I0+0+0+0:vgprValuA_X0_I0+0+0+0+1], v[vgprValuB_X0_I0+0+0+0:vgprValuB_X0_I0+0+0+0+1], a[0:3]
/*  mfmaIndex:1  */
_ds_load_b128 v[vgprValuA_X2_I0+0:vgprValuA_X2_I0+0+3], v[vgprLocalReadAddrA] offset:64 // L -> Reg lro=32 swapByteOffset=0 ti=16 vIdx=0 rIdx=0 oIdx=0 buffer=2 iui=0
v_mfma_f32_16x16x16f16 a[4+0:7+0], v[vgprValuA_X0_I0+4+0+0:vgprValuA_X0_I0+4+0+0+1], v[vgprValuB_X0_I0+0+0+0:vgprValuB_X0_I0+0+0+0+1], a[4:7]
/*  mfmaIndex:2  */
_ds_load_b128 v[vgprValuB_X2_I0+0:vgprValuB_X2_I0+0+3], v[vgprLocalReadAddrB] offset:64 // L -> Reg lro=32 swapByteOffset=0 ti=128 vIdx=0 rIdx=0 oIdx=0 buffer=2 iui=0
v_mfma_f32_16x16x16f16 a[8+0:11+0], v[vgprValuA_X0_I0+8+0+0:vgprValuA_X0_I0+8+0+0+1], v[vgprValuB_X0_I0+0+0+0:vgprValuB_X0_I0+0+0+0+1], a[8:11]
/*  mfmaIndex:3  */
_ds_load_b128 v[vgprValuA_X2_I0+4:vgprValuA_X2_I0+4+3], v[vgprLocalReadAddrA] offset:2624 // L -> Reg lro=32 swapByteOffset=0 ti=16 vIdx=1 rIdx=0 oIdx=0 buffer=2 iui=0
v_mfma_f32_16x16x16f16 a[12+0:15+0], v[vgprValuA_X0_I0+12+0+0:vgprValuA_X0_I0+12+0+0+1], v[vgprValuB_X0_I0+0+0+0:vgprValuB_X0_I0+0+0+0+1], a[12:15]
/*  mfmaIndex:4  */
_ds_load_b128 v[vgprValuA_X2_I0+8:vgprValuA_X2_I0+8+3], v[vgprLocalReadAddrA] offset:5184 // L -> Reg lro=32 swapByteOffset=0 ti=16 vIdx=2 rIdx=0 oIdx=0 buffer=2 iui=0
v_mfma_f32_16x16x16f16 a[16+0:19+0], v[vgprValuA_X0_I0+16+0+0:vgprValuA_X0_I0+16+0+0+1], v[vgprValuB_X0_I0+0+0+0:vgprValuB_X0_I0+0+0+0+1], a[16:19]
/*  mfmaIndex:5  */
_ds_load_b128 v[vgprValuA_X2_I0+12:vgprValuA_X2_I0+12+3], v[vgprLocalReadAddrA] offset:7744 // L -> Reg lro=32 swapByteOffset=0 ti=16 vIdx=3 rIdx=0 oIdx=0 buffer=2 iui=0
v_mfma_f32_16x16x16f16 a[20+0:23+0], v[vgprValuA_X0_I0+20+0+0:vgprValuA_X0_I0+20+0+0+1], v[vgprValuB_X0_I0+0+0+0:vgprValuB_X0_I0+0+0+0+1], a[20:23]
/*  mfmaIndex:6  */
_ds_load_b128 v[vgprValuA_X2_I0+16:vgprValuA_X2_I0+16+3], v[vgprLocalReadAddrA] offset:10304 // L -> Reg lro=32 swapByteOffset=0 ti=16 vIdx=4 rIdx=0 oIdx=0 buffer=2 iui=0
v_mfma_f32_16x16x16f16 a[24+0:27+0], v[vgprValuA_X0_I0+24+0+0:vgprValuA_X0_I0+24+0+0+1], v[vgprValuB_X0_I0+0+0+0:vgprValuB_X0_I0+0+0+0+1], a[24:27]
/*  mfmaIndex:7  */
_ds_load_b128 v[vgprValuA_X2_I0+20:vgprValuA_X2_I0+20+3], v[vgprLocalReadAddrA] offset:12864 // L -> Reg lro=32 swapByteOffset=0 ti=16 vIdx=5 rIdx=0 oIdx=0 buffer=2 iui=0
v_mfma_f32_16x16x16f16 a[28+0:31+0], v[vgprValuA_X0_I0+28+0+0:vgprValuA_X0_I0+28+0+0+1], v[vgprValuB_X0_I0+0+0+0:vgprValuB_X0_I0+0+0+0+1], a[28:31]
/*  mfmaIndex:8  */
_ds_load_b128 v[vgprValuA_X2_I0+24:vgprValuA_X2_I0+24+3], v[vgprLocalReadAddrA] offset:15424 // L -> Reg lro=32 swapByteOffset=0 ti=16 vIdx=6 rIdx=0 oIdx=0 buffer=2 iui=0
v_mfma_f32_16x16x16f16 a[32+0:35+0], v[vgprValuA_X0_I0+32+0+0:vgprValuA_X0_I0+32+0+0+1], v[vgprValuB_X0_I0+0+0+0:vgprValuB_X0_I0+0+0+0+1], a[32:35]
/*  mfmaIndex:9  */
_ds_load_b128 v[vgprValuA_X2_I0+28:vgprValuA_X2_I0+28+3], v[vgprLocalReadAddrA] offset:17984 // L -> Reg lro=32 swapByteOffset=0 ti=16 vIdx=7 rIdx=0 oIdx=0 buffer=2 iui=0
v_mfma_f32_16x16x16f16 a[68+0:71+0], v[vgprValuA_X0_I0+32+0+0:vgprValuA_X0_I0+32+0+0+1], v[vgprValuB_X0_I0+4+0+0:vgprValuB_X0_I0+4+0+0+1], a[68:71]
/*  mfmaIndex:10  */
_ds_load_b128 v[vgprValuA_X2_I0+32:vgprValuA_X2_I0+32+3], v[vgprLocalReadAddrA] offset:20544 // L -> Reg lro=32 swapByteOffset=0 ti=16 vIdx=8 rIdx=0 oIdx=0 buffer=2 iui=0
v_mfma_f32_16x16x16f16 a[64+0:67+0], v[vgprValuA_X0_I0+28+0+0:vgprValuA_X0_I0+28+0+0+1], v[vgprValuB_X0_I0+4+0+0:vgprValuB_X0_I0+4+0+0+1], a[64:67]
/*  mfmaIndex:11  */
_ds_load_b128 v[vgprValuB_X2_I0+4:vgprValuB_X2_I0+4+3], v[vgprLocalReadAddrB] offset:224 // L -> Reg lro=32 swapByteOffset=0 ti=128 vIdx=0 rIdx=0 oIdx=0 buffer=2 iui=0
v_mfma_f32_16x16x16f16 a[60+0:63+0], v[vgprValuA_X0_I0+24+0+0:vgprValuA_X0_I0+24+0+0+1], v[vgprValuB_X0_I0+4+0+0:vgprValuB_X0_I0+4+0+0+1], a[60:63]
/*  mfmaIndex:12  */
_ds_load_b128 v[vgprValuB_X2_I0+8:vgprValuB_X2_I0+8+3], v[vgprLocalReadAddrB] offset:20544 // L -> Reg lro=32 swapByteOffset=0 ti=128 vIdx=1 rIdx=0 oIdx=0 buffer=2 iui=0
	;; [unrolled: 3-line block ×3, first 2 shown]
/* localReadsVacancy: latencyLeft 1 */
v_mfma_f32_16x16x16f16 a[52+0:55+0], v[vgprValuA_X0_I0+16+0+0:vgprValuA_X0_I0+16+0+0+1], v[vgprValuB_X0_I0+4+0+0:vgprValuB_X0_I0+4+0+0+1], a[52:55]
/*  mfmaIndex:14  */
/* localReadsVacancy: latencyLeft 5 */
v_mfma_f32_16x16x16f16 a[48+0:51+0], v[vgprValuA_X0_I0+12+0+0:vgprValuA_X0_I0+12+0+0+1], v[vgprValuB_X0_I0+4+0+0:vgprValuB_X0_I0+4+0+0+1], a[48:51]
/*  mfmaIndex:15  */
	;; [unrolled: 3-line block ×22, first 2 shown]
/* localReadsVacancy: latencyLeft 5 */
v_mfma_f32_16x16x16f16 a[108+0:111+0], v[vgprValuA_X0_I0+0+0+0:vgprValuA_X0_I0+0+0+0+1], v[vgprValuB_X0_I0+12+0+0:vgprValuB_X0_I0+12+0+0+1], a[108:111]
/* numPrefetchIter=0 */
/* dataAtIterA=-1 numReadsIterA=1 skipReadsIterA=1 readsPerIterA=9 */
/* dataAtIterB=-1 numReadsIterB=1 skipReadsIterB=1 readsPerIterB=4 */


/* iter 1 (last unrolled loop) */

/*  grEndMfmaIndex:0, lwStartMfmaIndex:123, lwEndMfmaIndex:123  */
/*  numMfmaForLR:17, barrierMfmaIndex:126 */
/*  mfmaIndex:36  */
/* localReadsVacancy: latencyLeft 5 */
s_waitcnt lgkmcnt(13)                              // lgkmcnt=0 vmcnt=-1wait for prior local read local write old=0, new=13 newLW=0 newLR=13
v_mfma_f32_16x16x16f16 a[0+0:3+0], v[vgprValuA_X0_I0+0+2+0:vgprValuA_X0_I0+0+2+0+1], v[vgprValuB_X0_I0+0+2+0:vgprValuB_X0_I0+0+2+0+1], a[0:3]
/*  mfmaIndex:37  */
/* localReadsVacancy: latencyLeft 5 */
v_mfma_f32_16x16x16f16 a[4+0:7+0], v[vgprValuA_X0_I0+4+2+0:vgprValuA_X0_I0+4+2+0+1], v[vgprValuB_X0_I0+0+2+0:vgprValuB_X0_I0+0+2+0+1], a[4:7]
/*  mfmaIndex:38  */
/* localReadsVacancy: latencyLeft 5 */
	;; [unrolled: 3-line block ×35, first 2 shown]
v_mfma_f32_16x16x16f16 a[108+0:111+0], v[vgprValuA_X0_I0+0+2+0:vgprValuA_X0_I0+0+2+0+1], v[vgprValuB_X0_I0+12+2+0:vgprValuB_X0_I0+12+2+0+1], a[108:111]
/* numPrefetchIter=0 */
/* dataAtIterA=-1 numReadsIterA=1 skipReadsIterA=1 readsPerIterA=9 */
/* dataAtIterB=-1 numReadsIterB=1 skipReadsIterB=1 readsPerIterB=4 */


/* iter 2 (last unrolled loop) */

/*  grEndMfmaIndex:0, lwStartMfmaIndex:123, lwEndMfmaIndex:123  */
/*  numMfmaForLR:17, barrierMfmaIndex:126 */
/*  mfmaIndex:72  */
/* localReadsVacancy: latencyLeft 5 */
s_waitcnt lgkmcnt(0)                               // lgkmcnt=0 vmcnt=-1wait for prior local read local write old=0, new=0 newLW=0 newLR=0
v_mfma_f32_16x16x16f16 a[0+0:3+0], v[vgprValuA_X2_I0+0+0+0:vgprValuA_X2_I0+0+0+0+1], v[vgprValuB_X2_I0+0+0+0:vgprValuB_X2_I0+0+0+0+1], a[0:3]
/*  mfmaIndex:73  */
/* localReadsVacancy: latencyLeft 5 */
v_mfma_f32_16x16x16f16 a[4+0:7+0], v[vgprValuA_X2_I0+4+0+0:vgprValuA_X2_I0+4+0+0+1], v[vgprValuB_X2_I0+0+0+0:vgprValuB_X2_I0+0+0+0+1], a[4:7]
/*  mfmaIndex:74  */
/* localReadsVacancy: latencyLeft 5 */
	;; [unrolled: 3-line block ×35, first 2 shown]
v_mfma_f32_16x16x16f16 a[108+0:111+0], v[vgprValuA_X2_I0+0+0+0:vgprValuA_X2_I0+0+0+0+1], v[vgprValuB_X2_I0+12+0+0:vgprValuB_X2_I0+12+0+0+1], a[108:111]
/* numPrefetchIter=0 */
/* dataAtIterA=0 numReadsIterA=1 skipReadsIterA=0 readsPerIterA=9 */
/* dataAtIterB=0 numReadsIterB=1 skipReadsIterB=0 readsPerIterB=4 */


/* iter 3 (last unrolled loop) */

/*  grEndMfmaIndex:0, lwStartMfmaIndex:123, lwEndMfmaIndex:123  */
/*  numMfmaForLR:17, barrierMfmaIndex:126 */
/*  mfmaIndex:108  */
s_waitcnt lgkmcnt(0)                               // lgkmcnt=0 vmcnt=-1wait for prior local read local write old=0, new=0 newLW=0 newLR=0
v_mfma_f32_16x16x16f16 a[0+0:3+0], v[vgprValuA_X2_I0+0+2+0:vgprValuA_X2_I0+0+2+0+1], v[vgprValuB_X2_I0+0+2+0:vgprValuB_X2_I0+0+2+0+1], a[0:3]
/*  mfmaIndex:109  */
v_mfma_f32_16x16x16f16 a[4+0:7+0], v[vgprValuA_X2_I0+4+2+0:vgprValuA_X2_I0+4+2+0+1], v[vgprValuB_X2_I0+0+2+0:vgprValuB_X2_I0+0+2+0+1], a[4:7]
/*  mfmaIndex:110  */
	;; [unrolled: 2-line block ×14, first 2 shown]
/* 1 LDS buffer: read-sync-write */
s_waitcnt lgkmcnt(0)                               // 
s_barrier                                          // 
v_mfma_f32_16x16x16f16 a[48+0:51+0], v[vgprValuA_X2_I0+12+2+0:vgprValuA_X2_I0+12+2+0+1], v[vgprValuB_X2_I0+4+2+0:vgprValuB_X2_I0+4+2+0+1], a[48:51]
/*  mfmaIndex:123  */
v_mfma_f32_16x16x16f16 a[44+0:47+0], v[vgprValuA_X2_I0+8+2+0:vgprValuA_X2_I0+8+2+0+1], v[vgprValuB_X2_I0+4+2+0:vgprValuB_X2_I0+4+2+0+1], a[44:47]
/*  mfmaIndex:124  */
	;; [unrolled: 2-line block ×21, first 2 shown]
v_mfma_f32_16x16x16f16 a[108+0:111+0], v[vgprValuA_X2_I0+0+2+0:vgprValuA_X2_I0+0+2+0+1], v[vgprValuB_X2_I0+12+2+0:vgprValuB_X2_I0+12+2+0+1], a[108:111]
/* numPrefetchIter=0 */
/* dataAtIterA=0 numReadsIterA=1 skipReadsIterA=0 readsPerIterA=9 */
/* dataAtIterB=0 numReadsIterB=1 skipReadsIterB=0 readsPerIterB=4 */

/* Stores for OptNLL */
Summation_End_OptNLL_16:
/* endSummation: add vgpr [0...206) to pool */
.set NumFullBlocks, UNDEF
.set WgmRemainder1, UNDEF
.set MagicNumberWgmRemainder1, UNDEF

/* Mapping of Acc register -> C Vgpr register */
/* computeStoreVgprs */
v_lshrrev_b32 v4, 6, v[vgprSerial]                 // v4 = v[vgprSerial] / 64
v_lshrrev_b32 v1, 0, v4                            // v1 = v4 / 1
v_mul_lo_u32 v1, 0x10, v1                          // wave coordination offset 1
v_and_b32 v5, 15, v[vgprSerial]                    // v5 = v[vgprSerial] % 16
_v_add_lshl_u32 v1, v5, v1, 1                      // coordination 1 = vwb *(wave_id1 + tid1)
v_mul_lo_u32 v2, v1, s[sgprStrideC1J]              //  offset 1
v_mul_lo_u32 v3, v1, s[sgprStrideD1J]              //  offset 1
v_and_b32 v0, 63, v[vgprSerial]                    // v0 = v[vgprSerial] % 64
v_lshrrev_b32 v0, 4, v0                            // v0 = v0 / 16
v_lshlrev_b32 v0, 0x2, v0                          // thread0 * continuous_output
v_and_b32 v5, 0, v4                                // v5 = v4 % 1
v_mul_lo_u32 v5, 0x10, v5                          // wave coordination offset 0
_v_add_lshl_u32 v0, v5, v0, 0                      // coordination 0 = vwa *(wave_id0 + tid0)
s_mul_i32 s53, 144, s[sgprWorkGroup0]              // wgp0 * MT0
_v_add_u32 v0, s53, v0                             // coord 0 = (tid0/MI_m)*4 + waveG0*MIB_m + MT0*SG0
s_mul_i32 s53, 256, s[sgprWorkGroup1]              // wgp1 * MT1
_v_add_u32 v1, s53, v1                             // coord 1 = (tid0%MI_m) + waveG1*MIB_n + MT1*SG1
GW_B0_E0_19:

/* edge=0, allocate 2 sgpr. perBatchTmpS=2 perBatchMaskS=0 perElementMaskS=0 elementsPerBatch=60 */
/* optSingleColVgpr=1 optSharedColVgpr=0 optSGPRUsage=BufferLoad_Mask optSrdIncForRow=1 */

/******************************************/
/* Global Write Batch #0 (d1,d0,vc1,vc0) = */
/*    (0,0,0,0:vw4); (0,1,0,0:vw4); (0,2,0,0:vw4); (0,3,0,0:vw4); (0,4,0,0:vw4); (0,5,0,0:vw4); (0,6,0,0:vw4); (0,7,0,0:vw4); (0,8,0,0:vw4); (0,0,1,0:vw4); (0,1,1,0:vw4); (0,2,1,0:vw4); (0,3,1,0:vw4); (0,4,1,0:vw4); (0,5,1,0:vw4); (0,6,1,0:vw4); (0,7,1,0:vw4); (0,8,1,0:vw4); (1,0,0,0:vw4); (1,1,0,0:vw4); (1,2,0,0:vw4); (1,3,0,0:vw4); (1,4,0,0:vw4); (1,5,0,0:vw4); (1,6,0,0:vw4); (1,7,0,0:vw4); (1,8,0,0:vw4); (1,0,1,0:vw4); (1,1,1,0:vw4); (1,2,1,0:vw4); (1,3,1,0:vw4); (1,4,1,0:vw4); (1,5,1,0:vw4); (1,6,1,0:vw4); (1,7,1,0:vw4); (1,8,1,0:vw4) */
/******************************************/

/* calc coords, apply mask, and issue loads (if necessary) */
/* (d1,vc1,d0,vc0)=(0,0,0,0) */
/* (d1,vc1,d0,vc0)=(0,0,1,0) */
	;; [unrolled: 1-line block ×36, first 2 shown]
_v_add_lshl_u32 v6, v3, v0, 0x1                    // optSingleColVgpr scaleToBpe: sharedAddrVgpr <- cinRowPtr + coord0, scaled by BPE. BSHERE:coord0=0, coord0Vgpr=0
v_accvgpr_read_b32 v[vgprValuC+8], acc0 // copy acc to vreg[0]
v_accvgpr_read_b32 v[vgprValuC+9], acc1 // copy acc to vreg[1]
v_accvgpr_read_b32 v[vgprValuC+10], acc2 // copy acc to vreg[2]
v_accvgpr_read_b32 v[vgprValuC+11], acc3 // copy acc to vreg[3]
v_accvgpr_read_b32 v[vgprValuC+12], acc4 // copy acc to vreg[4]
v_accvgpr_read_b32 v[vgprValuC+13], acc5 // copy acc to vreg[5]
v_accvgpr_read_b32 v[vgprValuC+14], acc6 // copy acc to vreg[6]
v_accvgpr_read_b32 v[vgprValuC+15], acc7 // copy acc to vreg[7]
v_accvgpr_read_b32 v[vgprValuC+16], acc8 // copy acc to vreg[8]
v_accvgpr_read_b32 v[vgprValuC+17], acc9 // copy acc to vreg[9]
v_accvgpr_read_b32 v[vgprValuC+18], acc10 // copy acc to vreg[10]
v_accvgpr_read_b32 v[vgprValuC+19], acc11 // copy acc to vreg[11]
v_accvgpr_read_b32 v[vgprValuC+20], acc12 // copy acc to vreg[12]
v_accvgpr_read_b32 v[vgprValuC+21], acc13 // copy acc to vreg[13]
v_accvgpr_read_b32 v[vgprValuC+22], acc14 // copy acc to vreg[14]
v_accvgpr_read_b32 v[vgprValuC+23], acc15 // copy acc to vreg[15]
v_accvgpr_read_b32 v[vgprValuC+24], acc16 // copy acc to vreg[16]
v_accvgpr_read_b32 v[vgprValuC+25], acc17 // copy acc to vreg[17]
v_accvgpr_read_b32 v[vgprValuC+26], acc18 // copy acc to vreg[18]
v_accvgpr_read_b32 v[vgprValuC+27], acc19 // copy acc to vreg[19]
v_accvgpr_read_b32 v[vgprValuC+28], acc20 // copy acc to vreg[20]
v_accvgpr_read_b32 v[vgprValuC+29], acc21 // copy acc to vreg[21]
v_accvgpr_read_b32 v[vgprValuC+30], acc22 // copy acc to vreg[22]
v_accvgpr_read_b32 v[vgprValuC+31], acc23 // copy acc to vreg[23]
v_accvgpr_read_b32 v[vgprValuC+32], acc24 // copy acc to vreg[24]
v_accvgpr_read_b32 v[vgprValuC+33], acc25 // copy acc to vreg[25]
v_accvgpr_read_b32 v[vgprValuC+34], acc26 // copy acc to vreg[26]
v_accvgpr_read_b32 v[vgprValuC+35], acc27 // copy acc to vreg[27]
v_accvgpr_read_b32 v[vgprValuC+36], acc28 // copy acc to vreg[28]
v_accvgpr_read_b32 v[vgprValuC+37], acc29 // copy acc to vreg[29]
v_accvgpr_read_b32 v[vgprValuC+38], acc30 // copy acc to vreg[30]
v_accvgpr_read_b32 v[vgprValuC+39], acc31 // copy acc to vreg[31]
v_accvgpr_read_b32 v[vgprValuC+40], acc32 // copy acc to vreg[32]
v_accvgpr_read_b32 v[vgprValuC+41], acc33 // copy acc to vreg[33]
v_accvgpr_read_b32 v[vgprValuC+42], acc34 // copy acc to vreg[34]
v_accvgpr_read_b32 v[vgprValuC+43], acc35 // copy acc to vreg[35]
v_accvgpr_read_b32 v[vgprValuC+44], acc36 // copy acc to vreg[36]
v_accvgpr_read_b32 v[vgprValuC+45], acc37 // copy acc to vreg[37]
v_accvgpr_read_b32 v[vgprValuC+46], acc38 // copy acc to vreg[38]
v_accvgpr_read_b32 v[vgprValuC+47], acc39 // copy acc to vreg[39]
v_accvgpr_read_b32 v[vgprValuC+48], acc40 // copy acc to vreg[40]
v_accvgpr_read_b32 v[vgprValuC+49], acc41 // copy acc to vreg[41]
v_accvgpr_read_b32 v[vgprValuC+50], acc42 // copy acc to vreg[42]
v_accvgpr_read_b32 v[vgprValuC+51], acc43 // copy acc to vreg[43]
v_accvgpr_read_b32 v[vgprValuC+52], acc44 // copy acc to vreg[44]
v_accvgpr_read_b32 v[vgprValuC+53], acc45 // copy acc to vreg[45]
v_accvgpr_read_b32 v[vgprValuC+54], acc46 // copy acc to vreg[46]
v_accvgpr_read_b32 v[vgprValuC+55], acc47 // copy acc to vreg[47]
v_accvgpr_read_b32 v[vgprValuC+56], acc48 // copy acc to vreg[48]
v_accvgpr_read_b32 v[vgprValuC+57], acc49 // copy acc to vreg[49]
v_accvgpr_read_b32 v[vgprValuC+58], acc50 // copy acc to vreg[50]
v_accvgpr_read_b32 v[vgprValuC+59], acc51 // copy acc to vreg[51]
v_accvgpr_read_b32 v[vgprValuC+60], acc52 // copy acc to vreg[52]
v_accvgpr_read_b32 v[vgprValuC+61], acc53 // copy acc to vreg[53]
v_accvgpr_read_b32 v[vgprValuC+62], acc54 // copy acc to vreg[54]
v_accvgpr_read_b32 v[vgprValuC+63], acc55 // copy acc to vreg[55]
v_accvgpr_read_b32 v[vgprValuC+64], acc56 // copy acc to vreg[56]
v_accvgpr_read_b32 v[vgprValuC+65], acc57 // copy acc to vreg[57]
v_accvgpr_read_b32 v[vgprValuC+66], acc58 // copy acc to vreg[58]
v_accvgpr_read_b32 v[vgprValuC+67], acc59 // copy acc to vreg[59]
v_accvgpr_read_b32 v[vgprValuC+68], acc60 // copy acc to vreg[60]
v_accvgpr_read_b32 v[vgprValuC+69], acc61 // copy acc to vreg[61]
v_accvgpr_read_b32 v[vgprValuC+70], acc62 // copy acc to vreg[62]
v_accvgpr_read_b32 v[vgprValuC+71], acc63 // copy acc to vreg[63]
v_accvgpr_read_b32 v[vgprValuC+72], acc64 // copy acc to vreg[64]
v_accvgpr_read_b32 v[vgprValuC+73], acc65 // copy acc to vreg[65]
v_accvgpr_read_b32 v[vgprValuC+74], acc66 // copy acc to vreg[66]
v_accvgpr_read_b32 v[vgprValuC+75], acc67 // copy acc to vreg[67]
v_accvgpr_read_b32 v[vgprValuC+76], acc68 // copy acc to vreg[68]
v_accvgpr_read_b32 v[vgprValuC+77], acc69 // copy acc to vreg[69]
v_accvgpr_read_b32 v[vgprValuC+78], acc70 // copy acc to vreg[70]
v_accvgpr_read_b32 v[vgprValuC+79], acc71 // copy acc to vreg[71]
v_accvgpr_read_b32 v[vgprValuC+80], acc72 // copy acc to vreg[72]
v_accvgpr_read_b32 v[vgprValuC+81], acc73 // copy acc to vreg[73]
v_accvgpr_read_b32 v[vgprValuC+82], acc74 // copy acc to vreg[74]
v_accvgpr_read_b32 v[vgprValuC+83], acc75 // copy acc to vreg[75]
v_accvgpr_read_b32 v[vgprValuC+84], acc76 // copy acc to vreg[76]
v_accvgpr_read_b32 v[vgprValuC+85], acc77 // copy acc to vreg[77]
v_accvgpr_read_b32 v[vgprValuC+86], acc78 // copy acc to vreg[78]
v_accvgpr_read_b32 v[vgprValuC+87], acc79 // copy acc to vreg[79]
v_accvgpr_read_b32 v[vgprValuC+88], acc80 // copy acc to vreg[80]
v_accvgpr_read_b32 v[vgprValuC+89], acc81 // copy acc to vreg[81]
v_accvgpr_read_b32 v[vgprValuC+90], acc82 // copy acc to vreg[82]
v_accvgpr_read_b32 v[vgprValuC+91], acc83 // copy acc to vreg[83]
v_accvgpr_read_b32 v[vgprValuC+92], acc84 // copy acc to vreg[84]
v_accvgpr_read_b32 v[vgprValuC+93], acc85 // copy acc to vreg[85]
v_accvgpr_read_b32 v[vgprValuC+94], acc86 // copy acc to vreg[86]
v_accvgpr_read_b32 v[vgprValuC+95], acc87 // copy acc to vreg[87]
v_accvgpr_read_b32 v[vgprValuC+96], acc88 // copy acc to vreg[88]
v_accvgpr_read_b32 v[vgprValuC+97], acc89 // copy acc to vreg[89]
v_accvgpr_read_b32 v[vgprValuC+98], acc90 // copy acc to vreg[90]
v_accvgpr_read_b32 v[vgprValuC+99], acc91 // copy acc to vreg[91]
v_accvgpr_read_b32 v[vgprValuC+100], acc92 // copy acc to vreg[92]
v_accvgpr_read_b32 v[vgprValuC+101], acc93 // copy acc to vreg[93]
v_accvgpr_read_b32 v[vgprValuC+102], acc94 // copy acc to vreg[94]
v_accvgpr_read_b32 v[vgprValuC+103], acc95 // copy acc to vreg[95]
v_accvgpr_read_b32 v[vgprValuC+104], acc96 // copy acc to vreg[96]
v_accvgpr_read_b32 v[vgprValuC+105], acc97 // copy acc to vreg[97]
v_accvgpr_read_b32 v[vgprValuC+106], acc98 // copy acc to vreg[98]
v_accvgpr_read_b32 v[vgprValuC+107], acc99 // copy acc to vreg[99]
v_accvgpr_read_b32 v[vgprValuC+108], acc100 // copy acc to vreg[100]
v_accvgpr_read_b32 v[vgprValuC+109], acc101 // copy acc to vreg[101]
v_accvgpr_read_b32 v[vgprValuC+110], acc102 // copy acc to vreg[102]
v_accvgpr_read_b32 v[vgprValuC+111], acc103 // copy acc to vreg[103]
v_accvgpr_read_b32 v[vgprValuC+112], acc104 // copy acc to vreg[104]
v_accvgpr_read_b32 v[vgprValuC+113], acc105 // copy acc to vreg[105]
v_accvgpr_read_b32 v[vgprValuC+114], acc106 // copy acc to vreg[106]
v_accvgpr_read_b32 v[vgprValuC+115], acc107 // copy acc to vreg[107]
v_accvgpr_read_b32 v[vgprValuC+116], acc108 // copy acc to vreg[108]
v_accvgpr_read_b32 v[vgprValuC+117], acc109 // copy acc to vreg[109]
v_accvgpr_read_b32 v[vgprValuC+118], acc110 // copy acc to vreg[110]
v_accvgpr_read_b32 v[vgprValuC+119], acc111 // copy acc to vreg[111]
v_accvgpr_read_b32 v[vgprValuC+120], acc112 // copy acc to vreg[112]
v_accvgpr_read_b32 v[vgprValuC+121], acc113 // copy acc to vreg[113]
v_accvgpr_read_b32 v[vgprValuC+122], acc114 // copy acc to vreg[114]
v_accvgpr_read_b32 v[vgprValuC+123], acc115 // copy acc to vreg[115]
v_accvgpr_read_b32 v[vgprValuC+124], acc116 // copy acc to vreg[116]
v_accvgpr_read_b32 v[vgprValuC+125], acc117 // copy acc to vreg[117]
v_accvgpr_read_b32 v[vgprValuC+126], acc118 // copy acc to vreg[118]
v_accvgpr_read_b32 v[vgprValuC+127], acc119 // copy acc to vreg[119]
v_accvgpr_read_b32 v[vgprValuC+128], acc120 // copy acc to vreg[120]
v_accvgpr_read_b32 v[vgprValuC+129], acc121 // copy acc to vreg[121]
v_accvgpr_read_b32 v[vgprValuC+130], acc122 // copy acc to vreg[122]
v_accvgpr_read_b32 v[vgprValuC+131], acc123 // copy acc to vreg[123]
v_accvgpr_read_b32 v[vgprValuC+132], acc124 // copy acc to vreg[124]
v_accvgpr_read_b32 v[vgprValuC+133], acc125 // copy acc to vreg[125]
v_accvgpr_read_b32 v[vgprValuC+134], acc126 // copy acc to vreg[126]
v_accvgpr_read_b32 v[vgprValuC+135], acc127 // copy acc to vreg[127]
v_accvgpr_read_b32 v[vgprValuC+136], acc128 // copy acc to vreg[128]
v_accvgpr_read_b32 v[vgprValuC+137], acc129 // copy acc to vreg[129]
v_accvgpr_read_b32 v[vgprValuC+138], acc130 // copy acc to vreg[130]
v_accvgpr_read_b32 v[vgprValuC+139], acc131 // copy acc to vreg[131]
v_accvgpr_read_b32 v[vgprValuC+140], acc132 // copy acc to vreg[132]
v_accvgpr_read_b32 v[vgprValuC+141], acc133 // copy acc to vreg[133]
v_accvgpr_read_b32 v[vgprValuC+142], acc134 // copy acc to vreg[134]
v_accvgpr_read_b32 v[vgprValuC+143], acc135 // copy acc to vreg[135]
v_accvgpr_read_b32 v[vgprValuC+144], acc136 // copy acc to vreg[136]
v_accvgpr_read_b32 v[vgprValuC+145], acc137 // copy acc to vreg[137]
v_accvgpr_read_b32 v[vgprValuC+146], acc138 // copy acc to vreg[138]
v_accvgpr_read_b32 v[vgprValuC+147], acc139 // copy acc to vreg[139]
v_accvgpr_read_b32 v[vgprValuC+148], acc140 // copy acc to vreg[140]
v_accvgpr_read_b32 v[vgprValuC+149], acc141 // copy acc to vreg[141]
v_accvgpr_read_b32 v[vgprValuC+150], acc142 // copy acc to vreg[142]
v_accvgpr_read_b32 v[vgprValuC+151], acc143 // copy acc to vreg[143]
s_nop 1                                            // 2 wait states required before reading vgpr

/* apply mask, calc new C and issue writes */
v_cvt_f16_f32 v[vgprValuC+8], v[vgprValuC+8]       // convert C to fp16
v_cvt_f16_f32 v[vgprValuC+9], v[vgprValuC+9]       // convert C to fp16
v_pack_b32_f16 v8, v[vgprValuC+8], v[vgprValuC+9]  // Pack with neighbor
v_cvt_f16_f32 v[vgprValuC+10], v[vgprValuC+10]     // convert C to fp16
v_cvt_f16_f32 v[vgprValuC+11], v[vgprValuC+11]     // convert C to fp16
v_pack_b32_f16 v9, v[vgprValuC+10], v[vgprValuC+11] // Pack with neighbor
_buffer_store_b64 v[8:9], v6, s[sgprSrdD:sgprSrdD+3], 0, offen, offset:0 // store D
v_cvt_f16_f32 v[vgprValuC+12], v[vgprValuC+12]     // convert C to fp16
v_cvt_f16_f32 v[vgprValuC+13], v[vgprValuC+13]     // convert C to fp16
v_pack_b32_f16 v12, v[vgprValuC+12], v[vgprValuC+13] // Pack with neighbor
v_cvt_f16_f32 v[vgprValuC+14], v[vgprValuC+14]     // convert C to fp16
v_cvt_f16_f32 v[vgprValuC+15], v[vgprValuC+15]     // convert C to fp16
v_pack_b32_f16 v13, v[vgprValuC+14], v[vgprValuC+15] // Pack with neighbor
_buffer_store_b64 v[12:13], v6, s[sgprSrdD:sgprSrdD+3], 0, offen, offset:32 // store D
v_cvt_f16_f32 v[vgprValuC+16], v[vgprValuC+16]     // convert C to fp16
v_cvt_f16_f32 v[vgprValuC+17], v[vgprValuC+17]     // convert C to fp16
v_pack_b32_f16 v16, v[vgprValuC+16], v[vgprValuC+17] // Pack with neighbor
v_cvt_f16_f32 v[vgprValuC+18], v[vgprValuC+18]     // convert C to fp16
v_cvt_f16_f32 v[vgprValuC+19], v[vgprValuC+19]     // convert C to fp16
v_pack_b32_f16 v17, v[vgprValuC+18], v[vgprValuC+19] // Pack with neighbor
_buffer_store_b64 v[16:17], v6, s[sgprSrdD:sgprSrdD+3], 0, offen, offset:64 // store D
v_cvt_f16_f32 v[vgprValuC+20], v[vgprValuC+20]     // convert C to fp16
v_cvt_f16_f32 v[vgprValuC+21], v[vgprValuC+21]     // convert C to fp16
v_pack_b32_f16 v20, v[vgprValuC+20], v[vgprValuC+21] // Pack with neighbor
v_cvt_f16_f32 v[vgprValuC+22], v[vgprValuC+22]     // convert C to fp16
v_cvt_f16_f32 v[vgprValuC+23], v[vgprValuC+23]     // convert C to fp16
v_pack_b32_f16 v21, v[vgprValuC+22], v[vgprValuC+23] // Pack with neighbor
_buffer_store_b64 v[20:21], v6, s[sgprSrdD:sgprSrdD+3], 0, offen, offset:96 // store D
v_cvt_f16_f32 v[vgprValuC+24], v[vgprValuC+24]     // convert C to fp16
v_cvt_f16_f32 v[vgprValuC+25], v[vgprValuC+25]     // convert C to fp16
v_pack_b32_f16 v24, v[vgprValuC+24], v[vgprValuC+25] // Pack with neighbor
v_cvt_f16_f32 v[vgprValuC+26], v[vgprValuC+26]     // convert C to fp16
v_cvt_f16_f32 v[vgprValuC+27], v[vgprValuC+27]     // convert C to fp16
v_pack_b32_f16 v25, v[vgprValuC+26], v[vgprValuC+27] // Pack with neighbor
_buffer_store_b64 v[24:25], v6, s[sgprSrdD:sgprSrdD+3], 0, offen, offset:128 // store D
v_cvt_f16_f32 v[vgprValuC+28], v[vgprValuC+28]     // convert C to fp16
v_cvt_f16_f32 v[vgprValuC+29], v[vgprValuC+29]     // convert C to fp16
v_pack_b32_f16 v28, v[vgprValuC+28], v[vgprValuC+29] // Pack with neighbor
v_cvt_f16_f32 v[vgprValuC+30], v[vgprValuC+30]     // convert C to fp16
v_cvt_f16_f32 v[vgprValuC+31], v[vgprValuC+31]     // convert C to fp16
v_pack_b32_f16 v29, v[vgprValuC+30], v[vgprValuC+31] // Pack with neighbor
_buffer_store_b64 v[28:29], v6, s[sgprSrdD:sgprSrdD+3], 0, offen, offset:160 // store D
v_cvt_f16_f32 v[vgprValuC+32], v[vgprValuC+32]     // convert C to fp16
v_cvt_f16_f32 v[vgprValuC+33], v[vgprValuC+33]     // convert C to fp16
v_pack_b32_f16 v32, v[vgprValuC+32], v[vgprValuC+33] // Pack with neighbor
v_cvt_f16_f32 v[vgprValuC+34], v[vgprValuC+34]     // convert C to fp16
v_cvt_f16_f32 v[vgprValuC+35], v[vgprValuC+35]     // convert C to fp16
v_pack_b32_f16 v33, v[vgprValuC+34], v[vgprValuC+35] // Pack with neighbor
_buffer_store_b64 v[32:33], v6, s[sgprSrdD:sgprSrdD+3], 0, offen, offset:192 // store D
v_cvt_f16_f32 v[vgprValuC+36], v[vgprValuC+36]     // convert C to fp16
v_cvt_f16_f32 v[vgprValuC+37], v[vgprValuC+37]     // convert C to fp16
v_pack_b32_f16 v36, v[vgprValuC+36], v[vgprValuC+37] // Pack with neighbor
v_cvt_f16_f32 v[vgprValuC+38], v[vgprValuC+38]     // convert C to fp16
v_cvt_f16_f32 v[vgprValuC+39], v[vgprValuC+39]     // convert C to fp16
v_pack_b32_f16 v37, v[vgprValuC+38], v[vgprValuC+39] // Pack with neighbor
_buffer_store_b64 v[36:37], v6, s[sgprSrdD:sgprSrdD+3], 0, offen, offset:224 // store D
v_cvt_f16_f32 v[vgprValuC+40], v[vgprValuC+40]     // convert C to fp16
v_cvt_f16_f32 v[vgprValuC+41], v[vgprValuC+41]     // convert C to fp16
v_pack_b32_f16 v40, v[vgprValuC+40], v[vgprValuC+41] // Pack with neighbor
v_cvt_f16_f32 v[vgprValuC+42], v[vgprValuC+42]     // convert C to fp16
v_cvt_f16_f32 v[vgprValuC+43], v[vgprValuC+43]     // convert C to fp16
v_pack_b32_f16 v41, v[vgprValuC+42], v[vgprValuC+43] // Pack with neighbor
_buffer_store_b64 v[40:41], v6, s[sgprSrdD:sgprSrdD+3], 0, offen, offset:256 // store D
v_cvt_f16_f32 v[vgprValuC+44], v[vgprValuC+44]     // convert C to fp16
v_cvt_f16_f32 v[vgprValuC+45], v[vgprValuC+45]     // convert C to fp16
v_pack_b32_f16 v44, v[vgprValuC+44], v[vgprValuC+45] // Pack with neighbor
v_cvt_f16_f32 v[vgprValuC+46], v[vgprValuC+46]     // convert C to fp16
v_cvt_f16_f32 v[vgprValuC+47], v[vgprValuC+47]     // convert C to fp16
v_pack_b32_f16 v45, v[vgprValuC+46], v[vgprValuC+47] // Pack with neighbor
s_lshl_b32  s54, s[sgprStrideD1J], 1               // incToNextRow: Scale by BPE
s_add_u32  s[sgprSrdD+0], s[sgprSrdD+0], s54       // incToNextRow: gra SRD += inc(lower)
s_addc_u32  s[sgprSrdD+1], s[sgprSrdD+1], 0        // incToNextRow: gra SRD += inc(upper)
_buffer_store_b64 v[44:45], v6, s[sgprSrdD:sgprSrdD+3], 0, offen, offset:0 // store D
v_cvt_f16_f32 v[vgprValuC+48], v[vgprValuC+48]     // convert C to fp16
v_cvt_f16_f32 v[vgprValuC+49], v[vgprValuC+49]     // convert C to fp16
v_pack_b32_f16 v48, v[vgprValuC+48], v[vgprValuC+49] // Pack with neighbor
v_cvt_f16_f32 v[vgprValuC+50], v[vgprValuC+50]     // convert C to fp16
v_cvt_f16_f32 v[vgprValuC+51], v[vgprValuC+51]     // convert C to fp16
v_pack_b32_f16 v49, v[vgprValuC+50], v[vgprValuC+51] // Pack with neighbor
_buffer_store_b64 v[48:49], v6, s[sgprSrdD:sgprSrdD+3], 0, offen, offset:32 // store D
v_cvt_f16_f32 v[vgprValuC+52], v[vgprValuC+52]     // convert C to fp16
v_cvt_f16_f32 v[vgprValuC+53], v[vgprValuC+53]     // convert C to fp16
v_pack_b32_f16 v52, v[vgprValuC+52], v[vgprValuC+53] // Pack with neighbor
v_cvt_f16_f32 v[vgprValuC+54], v[vgprValuC+54]     // convert C to fp16
v_cvt_f16_f32 v[vgprValuC+55], v[vgprValuC+55]     // convert C to fp16
v_pack_b32_f16 v53, v[vgprValuC+54], v[vgprValuC+55] // Pack with neighbor
	;; [unrolled: 7-line block ×9, first 2 shown]
s_mul_i32 s54, s[sgprStrideD1J], 254               // scale StrideD *= numRows(127) * bpe
s_add_u32  s[sgprSrdD+0], s[sgprSrdD+0], s54       // incToNextRow: gra SRD += inc(lower)
s_addc_u32  s[sgprSrdD+1], s[sgprSrdD+1], 0        // incToNextRow: gra SRD += inc(upper)
_buffer_store_b64 v[80:81], v6, s[sgprSrdD:sgprSrdD+3], 0, offen, offset:0 // store D
v_cvt_f16_f32 v[vgprValuC+84], v[vgprValuC+84]     // convert C to fp16
v_cvt_f16_f32 v[vgprValuC+85], v[vgprValuC+85]     // convert C to fp16
v_pack_b32_f16 v84, v[vgprValuC+84], v[vgprValuC+85] // Pack with neighbor
v_cvt_f16_f32 v[vgprValuC+86], v[vgprValuC+86]     // convert C to fp16
v_cvt_f16_f32 v[vgprValuC+87], v[vgprValuC+87]     // convert C to fp16
v_pack_b32_f16 v85, v[vgprValuC+86], v[vgprValuC+87] // Pack with neighbor
_buffer_store_b64 v[84:85], v6, s[sgprSrdD:sgprSrdD+3], 0, offen, offset:32 // store D
v_cvt_f16_f32 v[vgprValuC+88], v[vgprValuC+88]     // convert C to fp16
v_cvt_f16_f32 v[vgprValuC+89], v[vgprValuC+89]     // convert C to fp16
v_pack_b32_f16 v88, v[vgprValuC+88], v[vgprValuC+89] // Pack with neighbor
v_cvt_f16_f32 v[vgprValuC+90], v[vgprValuC+90]     // convert C to fp16
v_cvt_f16_f32 v[vgprValuC+91], v[vgprValuC+91]     // convert C to fp16
v_pack_b32_f16 v89, v[vgprValuC+90], v[vgprValuC+91] // Pack with neighbor
	;; [unrolled: 7-line block ×4, first 2 shown]
_buffer_store_b64 v[96:97], v6, s[sgprSrdD:sgprSrdD+3], 0, offen, offset:128 // store D
v_cvt_f16_f32 v[vgprValuC+100], v[vgprValuC+100]   // convert C to fp16
v_cvt_f16_f32 v[vgprValuC+101], v[vgprValuC+101]   // convert C to fp16
v_pack_b32_f16 v100, v[vgprValuC+100], v[vgprValuC+101] // Pack with neighbor
v_cvt_f16_f32 v[vgprValuC+102], v[vgprValuC+102]   // convert C to fp16
v_cvt_f16_f32 v[vgprValuC+103], v[vgprValuC+103]   // convert C to fp16
v_pack_b32_f16 v101, v[vgprValuC+102], v[vgprValuC+103] // Pack with neighbor
_buffer_store_b64 v[100:101], v6, s[sgprSrdD:sgprSrdD+3], 0, offen, offset:160 // store D
v_cvt_f16_f32 v[vgprValuC+104], v[vgprValuC+104]   // convert C to fp16
v_cvt_f16_f32 v[vgprValuC+105], v[vgprValuC+105]   // convert C to fp16
v_pack_b32_f16 v104, v[vgprValuC+104], v[vgprValuC+105] // Pack with neighbor
v_cvt_f16_f32 v[vgprValuC+106], v[vgprValuC+106]   // convert C to fp16
v_cvt_f16_f32 v[vgprValuC+107], v[vgprValuC+107]   // convert C to fp16
v_pack_b32_f16 v105, v[vgprValuC+106], v[vgprValuC+107] // Pack with neighbor
	;; [unrolled: 7-line block ×5, first 2 shown]
s_lshl_b32  s54, s[sgprStrideD1J], 1               // incToNextRow: Scale by BPE
s_add_u32  s[sgprSrdD+0], s[sgprSrdD+0], s54       // incToNextRow: gra SRD += inc(lower)
s_addc_u32  s[sgprSrdD+1], s[sgprSrdD+1], 0        // incToNextRow: gra SRD += inc(upper)
_buffer_store_b64 v[116:117], v6, s[sgprSrdD:sgprSrdD+3], 0, offen, offset:0 // store D
v_cvt_f16_f32 v[vgprValuC+120], v[vgprValuC+120]   // convert C to fp16
v_cvt_f16_f32 v[vgprValuC+121], v[vgprValuC+121]   // convert C to fp16
v_pack_b32_f16 v120, v[vgprValuC+120], v[vgprValuC+121] // Pack with neighbor
v_cvt_f16_f32 v[vgprValuC+122], v[vgprValuC+122]   // convert C to fp16
v_cvt_f16_f32 v[vgprValuC+123], v[vgprValuC+123]   // convert C to fp16
v_pack_b32_f16 v121, v[vgprValuC+122], v[vgprValuC+123] // Pack with neighbor
_buffer_store_b64 v[120:121], v6, s[sgprSrdD:sgprSrdD+3], 0, offen, offset:32 // store D
v_cvt_f16_f32 v[vgprValuC+124], v[vgprValuC+124]   // convert C to fp16
v_cvt_f16_f32 v[vgprValuC+125], v[vgprValuC+125]   // convert C to fp16
v_pack_b32_f16 v124, v[vgprValuC+124], v[vgprValuC+125] // Pack with neighbor
v_cvt_f16_f32 v[vgprValuC+126], v[vgprValuC+126]   // convert C to fp16
v_cvt_f16_f32 v[vgprValuC+127], v[vgprValuC+127]   // convert C to fp16
v_pack_b32_f16 v125, v[vgprValuC+126], v[vgprValuC+127] // Pack with neighbor
	;; [unrolled: 7-line block ×8, first 2 shown]
_buffer_store_b64 v[148:149], v6, s[sgprSrdD:sgprSrdD+3], 0, offen, offset:256 // store D
s_nop 0                                            // 1 wait state required when next inst writes vgprs held by previous dwordx4 store inst
s_branch label_GW_End_21                           // jump to end
label_GW_End_21:

s_endpgm                                           // Kernel End
OptNLL_End_15:


/******************************************/
/* Ord. NoLoadLoop - Begin                                      */
/******************************************/




/* iter 0 (last unrolled loop) */

/*  grEndMfmaIndex:0, lwStartMfmaIndex:123, lwEndMfmaIndex:123  */
/*  numMfmaForLR:17, barrierMfmaIndex:126 */
/*  mfmaIndex:0  */
s_waitcnt lgkmcnt(0)                               // lgkmcnt=0 vmcnt=-1wait for prior local read local write old=0, new=0 newLW=0 newLR=0
v_mfma_f32_16x16x16f16 a[0+0:3+0], v[vgprValuA_X0_I0+0+0+0:vgprValuA_X0_I0+0+0+0+1], v[vgprValuB_X0_I0+0+0+0:vgprValuB_X0_I0+0+0+0+1], a[0:3]
/*  mfmaIndex:1  */
_ds_load_b128 v[vgprValuA_X2_I0+0:vgprValuA_X2_I0+0+3], v[vgprLocalReadAddrA] offset:64 // L -> Reg lro=32 swapByteOffset=0 ti=16 vIdx=0 rIdx=0 oIdx=0 buffer=2 iui=0
v_mfma_f32_16x16x16f16 a[4+0:7+0], v[vgprValuA_X0_I0+4+0+0:vgprValuA_X0_I0+4+0+0+1], v[vgprValuB_X0_I0+0+0+0:vgprValuB_X0_I0+0+0+0+1], a[4:7]
/*  mfmaIndex:2  */
_ds_load_b128 v[vgprValuB_X2_I0+0:vgprValuB_X2_I0+0+3], v[vgprLocalReadAddrB] offset:64 // L -> Reg lro=32 swapByteOffset=0 ti=128 vIdx=0 rIdx=0 oIdx=0 buffer=2 iui=0
v_mfma_f32_16x16x16f16 a[8+0:11+0], v[vgprValuA_X0_I0+8+0+0:vgprValuA_X0_I0+8+0+0+1], v[vgprValuB_X0_I0+0+0+0:vgprValuB_X0_I0+0+0+0+1], a[8:11]
/*  mfmaIndex:3  */
_ds_load_b128 v[vgprValuA_X2_I0+4:vgprValuA_X2_I0+4+3], v[vgprLocalReadAddrA] offset:2624 // L -> Reg lro=32 swapByteOffset=0 ti=16 vIdx=1 rIdx=0 oIdx=0 buffer=2 iui=0
v_mfma_f32_16x16x16f16 a[12+0:15+0], v[vgprValuA_X0_I0+12+0+0:vgprValuA_X0_I0+12+0+0+1], v[vgprValuB_X0_I0+0+0+0:vgprValuB_X0_I0+0+0+0+1], a[12:15]
/*  mfmaIndex:4  */
_ds_load_b128 v[vgprValuA_X2_I0+8:vgprValuA_X2_I0+8+3], v[vgprLocalReadAddrA] offset:5184 // L -> Reg lro=32 swapByteOffset=0 ti=16 vIdx=2 rIdx=0 oIdx=0 buffer=2 iui=0
	;; [unrolled: 3-line block ×8, first 2 shown]
v_mfma_f32_16x16x16f16 a[64+0:67+0], v[vgprValuA_X0_I0+28+0+0:vgprValuA_X0_I0+28+0+0+1], v[vgprValuB_X0_I0+4+0+0:vgprValuB_X0_I0+4+0+0+1], a[64:67]
/*  mfmaIndex:11  */
_ds_load_b128 v[vgprValuB_X2_I0+4:vgprValuB_X2_I0+4+3], v[vgprLocalReadAddrB] offset:224 // L -> Reg lro=32 swapByteOffset=0 ti=128 vIdx=0 rIdx=0 oIdx=0 buffer=2 iui=0
v_mfma_f32_16x16x16f16 a[60+0:63+0], v[vgprValuA_X0_I0+24+0+0:vgprValuA_X0_I0+24+0+0+1], v[vgprValuB_X0_I0+4+0+0:vgprValuB_X0_I0+4+0+0+1], a[60:63]
/*  mfmaIndex:12  */
_ds_load_b128 v[vgprValuB_X2_I0+8:vgprValuB_X2_I0+8+3], v[vgprLocalReadAddrB] offset:20544 // L -> Reg lro=32 swapByteOffset=0 ti=128 vIdx=1 rIdx=0 oIdx=0 buffer=2 iui=0
	;; [unrolled: 3-line block ×3, first 2 shown]
/* localReadsVacancy: latencyLeft 1 */
v_mfma_f32_16x16x16f16 a[52+0:55+0], v[vgprValuA_X0_I0+16+0+0:vgprValuA_X0_I0+16+0+0+1], v[vgprValuB_X0_I0+4+0+0:vgprValuB_X0_I0+4+0+0+1], a[52:55]
/*  mfmaIndex:14  */
/* localReadsVacancy: latencyLeft 5 */
v_mfma_f32_16x16x16f16 a[48+0:51+0], v[vgprValuA_X0_I0+12+0+0:vgprValuA_X0_I0+12+0+0+1], v[vgprValuB_X0_I0+4+0+0:vgprValuB_X0_I0+4+0+0+1], a[48:51]
/*  mfmaIndex:15  */
	;; [unrolled: 3-line block ×22, first 2 shown]
/* localReadsVacancy: latencyLeft 5 */
v_mfma_f32_16x16x16f16 a[108+0:111+0], v[vgprValuA_X0_I0+0+0+0:vgprValuA_X0_I0+0+0+0+1], v[vgprValuB_X0_I0+12+0+0:vgprValuB_X0_I0+12+0+0+1], a[108:111]
/* numPrefetchIter=0 */
/* dataAtIterA=-1 numReadsIterA=1 skipReadsIterA=1 readsPerIterA=9 */
/* dataAtIterB=-1 numReadsIterB=1 skipReadsIterB=1 readsPerIterB=4 */


/* iter 1 (last unrolled loop) */

/*  grEndMfmaIndex:0, lwStartMfmaIndex:123, lwEndMfmaIndex:123  */
/*  numMfmaForLR:17, barrierMfmaIndex:126 */
/*  mfmaIndex:36  */
/* localReadsVacancy: latencyLeft 5 */
s_waitcnt lgkmcnt(13)                              // lgkmcnt=0 vmcnt=-1wait for prior local read local write old=0, new=13 newLW=0 newLR=13
v_mfma_f32_16x16x16f16 a[0+0:3+0], v[vgprValuA_X0_I0+0+2+0:vgprValuA_X0_I0+0+2+0+1], v[vgprValuB_X0_I0+0+2+0:vgprValuB_X0_I0+0+2+0+1], a[0:3]
/*  mfmaIndex:37  */
/* localReadsVacancy: latencyLeft 5 */
v_mfma_f32_16x16x16f16 a[4+0:7+0], v[vgprValuA_X0_I0+4+2+0:vgprValuA_X0_I0+4+2+0+1], v[vgprValuB_X0_I0+0+2+0:vgprValuB_X0_I0+0+2+0+1], a[4:7]
/*  mfmaIndex:38  */
/* localReadsVacancy: latencyLeft 5 */
	;; [unrolled: 3-line block ×35, first 2 shown]
v_mfma_f32_16x16x16f16 a[108+0:111+0], v[vgprValuA_X0_I0+0+2+0:vgprValuA_X0_I0+0+2+0+1], v[vgprValuB_X0_I0+12+2+0:vgprValuB_X0_I0+12+2+0+1], a[108:111]
/* numPrefetchIter=0 */
/* dataAtIterA=-1 numReadsIterA=1 skipReadsIterA=1 readsPerIterA=9 */
/* dataAtIterB=-1 numReadsIterB=1 skipReadsIterB=1 readsPerIterB=4 */


/* iter 2 (last unrolled loop) */

/*  grEndMfmaIndex:0, lwStartMfmaIndex:123, lwEndMfmaIndex:123  */
/*  numMfmaForLR:17, barrierMfmaIndex:126 */
/*  mfmaIndex:72  */
/* localReadsVacancy: latencyLeft 5 */
s_waitcnt lgkmcnt(0)                               // lgkmcnt=0 vmcnt=-1wait for prior local read local write old=0, new=0 newLW=0 newLR=0
v_mfma_f32_16x16x16f16 a[0+0:3+0], v[vgprValuA_X2_I0+0+0+0:vgprValuA_X2_I0+0+0+0+1], v[vgprValuB_X2_I0+0+0+0:vgprValuB_X2_I0+0+0+0+1], a[0:3]
/*  mfmaIndex:73  */
/* localReadsVacancy: latencyLeft 5 */
v_mfma_f32_16x16x16f16 a[4+0:7+0], v[vgprValuA_X2_I0+4+0+0:vgprValuA_X2_I0+4+0+0+1], v[vgprValuB_X2_I0+0+0+0:vgprValuB_X2_I0+0+0+0+1], a[4:7]
/*  mfmaIndex:74  */
/* localReadsVacancy: latencyLeft 5 */
	;; [unrolled: 3-line block ×35, first 2 shown]
v_mfma_f32_16x16x16f16 a[108+0:111+0], v[vgprValuA_X2_I0+0+0+0:vgprValuA_X2_I0+0+0+0+1], v[vgprValuB_X2_I0+12+0+0:vgprValuB_X2_I0+12+0+0+1], a[108:111]
/* numPrefetchIter=0 */
/* dataAtIterA=0 numReadsIterA=1 skipReadsIterA=0 readsPerIterA=9 */
/* dataAtIterB=0 numReadsIterB=1 skipReadsIterB=0 readsPerIterB=4 */


/* iter 3 (last unrolled loop) */

/*  grEndMfmaIndex:0, lwStartMfmaIndex:123, lwEndMfmaIndex:123  */
/*  numMfmaForLR:17, barrierMfmaIndex:126 */
/*  mfmaIndex:108  */
s_waitcnt lgkmcnt(0)                               // lgkmcnt=0 vmcnt=-1wait for prior local read local write old=0, new=0 newLW=0 newLR=0
v_mfma_f32_16x16x16f16 a[0+0:3+0], v[vgprValuA_X2_I0+0+2+0:vgprValuA_X2_I0+0+2+0+1], v[vgprValuB_X2_I0+0+2+0:vgprValuB_X2_I0+0+2+0+1], a[0:3]
/*  mfmaIndex:109  */
v_mfma_f32_16x16x16f16 a[4+0:7+0], v[vgprValuA_X2_I0+4+2+0:vgprValuA_X2_I0+4+2+0+1], v[vgprValuB_X2_I0+0+2+0:vgprValuB_X2_I0+0+2+0+1], a[4:7]
/*  mfmaIndex:110  */
	;; [unrolled: 2-line block ×14, first 2 shown]
/* 1 LDS buffer: read-sync-write */
s_waitcnt lgkmcnt(0)                               // 
s_barrier                                          // 
v_mfma_f32_16x16x16f16 a[48+0:51+0], v[vgprValuA_X2_I0+12+2+0:vgprValuA_X2_I0+12+2+0+1], v[vgprValuB_X2_I0+4+2+0:vgprValuB_X2_I0+4+2+0+1], a[48:51]
/*  mfmaIndex:123  */
v_mfma_f32_16x16x16f16 a[44+0:47+0], v[vgprValuA_X2_I0+8+2+0:vgprValuA_X2_I0+8+2+0+1], v[vgprValuB_X2_I0+4+2+0:vgprValuB_X2_I0+4+2+0+1], a[44:47]
/*  mfmaIndex:124  */
	;; [unrolled: 2-line block ×21, first 2 shown]
v_mfma_f32_16x16x16f16 a[108+0:111+0], v[vgprValuA_X2_I0+0+2+0:vgprValuA_X2_I0+0+2+0+1], v[vgprValuB_X2_I0+12+2+0:vgprValuB_X2_I0+12+2+0+1], a[108:111]
/* numPrefetchIter=0 */
/* dataAtIterA=0 numReadsIterA=1 skipReadsIterA=0 readsPerIterA=9 */
/* dataAtIterB=0 numReadsIterB=1 skipReadsIterB=0 readsPerIterB=4 */

PrefetchGlobalLastIterEnd_5:


/******************************************/
/* Tail Loop                              */
/******************************************/


/* local write reset offsets a */


	;; [unrolled: 1-line block ×4, first 2 shown]
/* local write reset offsets b */




//numIterL = (((sizeL % LOCAL_DEPTHU) + LOCAL_SPLITU - 1) / LOCAL_SPLITU)
s_and_b32 s[sgprLoopCounterL], 63, s[sgprSizesSum+0] // s[sgprLoopCounterL] = s[sgprSizesSum+0] % 64
s_cmp_eq_u32 s[sgprLoopCounterL], 0x0              // numIterL == 0
s_cbranch_scc1 SkipTailLoopL_8                     // skip to end of tail loop b/c numIter==0
s_mov_b32 s[sgprOrigLoopCounter], 0                // repurpose to count each localRead increment


/* remove stagger offsets for tail loop */

s_mov_b32 s58, 3                                   // 
s_mul_hi_u32 s57, s58, s[sgprGlobalReadIncsA+0]    // 3 * GlobalReadIncs
s_mul_i32 s56, s58, s[sgprGlobalReadIncsA+0]       // 3 * GlobalReadIncs
s_mul_hi_u32 s59, s[sgprStaggerUIter], s[sgprGlobalReadIncsA+0] // StaggerUIter * GlobalReadIncs
s_mul_i32 s58, s[sgprStaggerUIter], s[sgprGlobalReadIncsA+0] // StaggerUIter * GlobalReadIncs
s_sub_u32 s56, s56, s58                            // start offset S in bytes
s_subb_u32 s57, s57, s59                           // start offset S in bytes
s_sub_u32 s56, s56, s[sgprWrapUA]                  // S - WrapU
s_subb_u32 s57, s57, s[sgprWrapUA+1]               // S - WrapU
s_add_u32 s[sgprSrdA+0], s[sgprSrdA+0], s56        // gra SRD += inc(lower)
s_addc_u32  s[sgprSrdA+1], s[sgprSrdA+1], s57      // gra SRD += inc(upper)
s_sub_u32 s[sgprShadowLimitA+0], s[sgprShadowLimitA+0], s56 // limit -= inc)
s_subb_u32 s[sgprShadowLimitA+1], s[sgprShadowLimitA+1], s57 // limit -= inc)
s_cmp_eq_u32 s[sgprShadowLimitA+1], 0              // are we within 2^32?
s_cselect_b32 s[sgprSrdA+2], s[sgprShadowLimitA+0], BufferLimitA // Move shadow to real if we are within 2^32

s_mov_b32 s58, 3                                   // 
s_mul_hi_u32 s57, s58, s[sgprGlobalReadIncsB+0]    // 3 * GlobalReadIncs
s_mul_i32 s56, s58, s[sgprGlobalReadIncsB+0]       // 3 * GlobalReadIncs
s_mul_hi_u32 s59, s[sgprStaggerUIter], s[sgprGlobalReadIncsB+0] // StaggerUIter * GlobalReadIncs
s_mul_i32 s58, s[sgprStaggerUIter], s[sgprGlobalReadIncsB+0] // StaggerUIter * GlobalReadIncs
s_sub_u32 s56, s56, s58                            // start offset S in bytes
s_subb_u32 s57, s57, s59                           // start offset S in bytes
s_sub_u32 s56, s56, s[sgprWrapUB]                  // S - WrapU
s_subb_u32 s57, s57, s[sgprWrapUB+1]               // S - WrapU
s_add_u32 s[sgprSrdB+0], s[sgprSrdB+0], s56        // gra SRD += inc(lower)
s_addc_u32  s[sgprSrdB+1], s[sgprSrdB+1], s57      // gra SRD += inc(upper)
s_sub_u32 s[sgprShadowLimitB+0], s[sgprShadowLimitB+0], s56 // limit -= inc)
s_subb_u32 s[sgprShadowLimitB+1], s[sgprShadowLimitB+1], s57 // limit -= inc)
s_cmp_eq_u32 s[sgprShadowLimitB+1], 0              // are we within 2^32?
s_cselect_b32 s[sgprSrdB+2], s[sgprShadowLimitB+0], BufferLimitB // Move shadow to real if we are within 2^32


/* Update M0 for DTLDS */


	;; [unrolled: 1-line block ×3, first 2 shown]
/* global read a */

/* g2l=0, load component 0 */
_buffer_load_d16_b16 v[vgprG2LA+0+0], v[vgprGlobalReadOffsetA+0], s[sgprSrdA:sgprSrdA+3], 0, offen offset:0 // load one buffer value
/* g2l=0, load component 1 */
_buffer_load_d16_hi_b16 v209, v[vgprGlobalReadOffsetA+0], s[sgprSrdA:sgprSrdA+3], 0, offen offset:2 // load one buffer value
s_waitcnt vmcnt(0)
v_or_b32 v[vgprG2LA+0+0], v[vgprG2LA+0+0], v209 // HasEccHalf: pack
/* g2l=1, load component 0 */
_buffer_load_d16_b16 v[vgprG2LA+1+0], v[vgprGlobalReadOffsetA+1], s[sgprSrdA:sgprSrdA+3], 0, offen offset:0 // load one buffer value
/* g2l=1, load component 1 */
_buffer_load_d16_hi_b16 v209, v[vgprGlobalReadOffsetA+1], s[sgprSrdA:sgprSrdA+3], 0, offen offset:2 // load one buffer value
s_waitcnt vmcnt(0)
v_or_b32 v[vgprG2LA+1+0], v[vgprG2LA+1+0], v209 // HasEccHalf: pack
	;; [unrolled: 6-line block ×18, first 2 shown]


/* Update M0 for DTLDS */


	;; [unrolled: 1-line block ×3, first 2 shown]
/* global read b */

/* g2l=0, load component 0 */
_buffer_load_d16_b16 v[vgprG2LB+0+0], v[vgprGlobalReadOffsetB+0], s[sgprSrdB:sgprSrdB+3], 0, offen offset:0 // load one buffer value
/* g2l=0, load component 1 */
_buffer_load_d16_hi_b16 v209, v[vgprGlobalReadOffsetB+0], s[sgprSrdB:sgprSrdB+3], 0, offen offset:2 // load one buffer value
s_waitcnt vmcnt(0)
v_or_b32 v[vgprG2LB+0+0], v[vgprG2LB+0+0], v209 // HasEccHalf: pack
/* g2l=1, load component 0 */
_buffer_load_d16_b16 v[vgprG2LB+1+0], v[vgprGlobalReadOffsetB+1], s[sgprSrdB:sgprSrdB+3], 0, offen offset:0 // load one buffer value
/* g2l=1, load component 1 */
_buffer_load_d16_hi_b16 v209, v[vgprGlobalReadOffsetB+1], s[sgprSrdB:sgprSrdB+3], 0, offen offset:2 // load one buffer value
s_waitcnt vmcnt(0)
v_or_b32 v[vgprG2LB+1+0], v[vgprG2LB+1+0], v209 // HasEccHalf: pack
	;; [unrolled: 6-line block ×32, first 2 shown]

s_waitcnt vmcnt(0)                                 // lgkmcnt=-1 vmcnt=02wait for global read

s_waitcnt lgkmcnt(0) & vmcnt(0)                    // force waitcnt0
s_barrier //


/* Done global A/B reads */


	;; [unrolled: 1-line block ×4, first 2 shown]
/* local write a */

_ds_store_b32 v[vgprLocalWriteAddrA], v[vgprG2LA+0] offset:0 // lwoA_0_0_0_0 = (0*LSCA)*(MT0I+PAD) + (0*LSPA) = 0
_ds_store_b32 v[vgprLocalWriteAddrA], v[vgprG2LA+1] offset:320 // lwoA_0_0_1_0 = (0*LSCA)*(MT0I+PAD) + (1*LSPA) = 320
_ds_store_b32 v[vgprLocalWriteAddrA], v[vgprG2LA+2] offset:640 // lwoA_0_0_2_0 = (0*LSCA)*(MT0I+PAD) + (2*LSPA) = 640
_ds_store_b32 v[vgprLocalWriteAddrA], v[vgprG2LA+3] offset:960 // lwoA_0_0_3_0 = (0*LSCA)*(MT0I+PAD) + (3*LSPA) = 960
_ds_store_b32 v[vgprLocalWriteAddrA], v[vgprG2LA+4] offset:1280 // lwoA_0_0_4_0 = (0*LSCA)*(MT0I+PAD) + (4*LSPA) = 1280
_ds_store_b32 v[vgprLocalWriteAddrA], v[vgprG2LA+5] offset:1600 // lwoA_0_0_5_0 = (0*LSCA)*(MT0I+PAD) + (5*LSPA) = 1600
_ds_store_b32 v[vgprLocalWriteAddrA], v[vgprG2LA+6] offset:1920 // lwoA_0_0_6_0 = (0*LSCA)*(MT0I+PAD) + (6*LSPA) = 1920
_ds_store_b32 v[vgprLocalWriteAddrA], v[vgprG2LA+7] offset:2240 // lwoA_0_0_7_0 = (0*LSCA)*(MT0I+PAD) + (7*LSPA) = 2240
_ds_store_b32 v[vgprLocalWriteAddrA], v[vgprG2LA+8] offset:2560 // lwoA_0_0_8_0 = (0*LSCA)*(MT0I+PAD) + (8*LSPA) = 2560
_ds_store_b32 v[vgprLocalWriteAddrA], v[vgprG2LA+9] offset:2880 // lwoA_0_0_9_0 = (0*LSCA)*(MT0I+PAD) + (9*LSPA) = 2880
_ds_store_b32 v[vgprLocalWriteAddrA], v[vgprG2LA+10] offset:3200 // lwoA_0_0_10_0 = (0*LSCA)*(MT0I+PAD) + (10*LSPA) = 3200
_ds_store_b32 v[vgprLocalWriteAddrA], v[vgprG2LA+11] offset:3520 // lwoA_0_0_11_0 = (0*LSCA)*(MT0I+PAD) + (11*LSPA) = 3520
_ds_store_b32 v[vgprLocalWriteAddrA], v[vgprG2LA+12] offset:3840 // lwoA_0_0_12_0 = (0*LSCA)*(MT0I+PAD) + (12*LSPA) = 3840
_ds_store_b32 v[vgprLocalWriteAddrA], v[vgprG2LA+13] offset:4160 // lwoA_0_0_13_0 = (0*LSCA)*(MT0I+PAD) + (13*LSPA) = 4160
_ds_store_b32 v[vgprLocalWriteAddrA], v[vgprG2LA+14] offset:4480 // lwoA_0_0_14_0 = (0*LSCA)*(MT0I+PAD) + (14*LSPA) = 4480
_ds_store_b32 v[vgprLocalWriteAddrA], v[vgprG2LA+15] offset:4800 // lwoA_0_0_15_0 = (0*LSCA)*(MT0I+PAD) + (15*LSPA) = 4800
_ds_store_b32 v[vgprLocalWriteAddrA], v[vgprG2LA+16] offset:5120 // lwoA_0_0_16_0 = (0*LSCA)*(MT0I+PAD) + (16*LSPA) = 5120
_ds_store_b32 v[vgprLocalWriteAddrA], v[vgprG2LA+17] offset:5440 // lwoA_0_0_17_0 = (0*LSCA)*(MT0I+PAD) + (17*LSPA) = 5440


/* local write b */

_ds_store_b32 v[vgprLocalWriteAddrB], v[vgprG2LB+0] offset:0 // lwoB_0_0_0_0 = (0*LSCB)*(MT1J+PAD) + (0*LSPB) = 0
_ds_store_b32 v[vgprLocalWriteAddrB], v[vgprG2LB+1] offset:320 // lwoB_0_0_1_0 = (0*LSCB)*(MT1J+PAD) + (1*LSPB) = 320
_ds_store_b32 v[vgprLocalWriteAddrB], v[vgprG2LB+2] offset:640 // lwoB_0_0_2_0 = (0*LSCB)*(MT1J+PAD) + (2*LSPB) = 640
_ds_store_b32 v[vgprLocalWriteAddrB], v[vgprG2LB+3] offset:960 // lwoB_0_0_3_0 = (0*LSCB)*(MT1J+PAD) + (3*LSPB) = 960
_ds_store_b32 v[vgprLocalWriteAddrB], v[vgprG2LB+4] offset:1280 // lwoB_0_0_4_0 = (0*LSCB)*(MT1J+PAD) + (4*LSPB) = 1280
_ds_store_b32 v[vgprLocalWriteAddrB], v[vgprG2LB+5] offset:1600 // lwoB_0_0_5_0 = (0*LSCB)*(MT1J+PAD) + (5*LSPB) = 1600
_ds_store_b32 v[vgprLocalWriteAddrB], v[vgprG2LB+6] offset:1920 // lwoB_0_0_6_0 = (0*LSCB)*(MT1J+PAD) + (6*LSPB) = 1920
_ds_store_b32 v[vgprLocalWriteAddrB], v[vgprG2LB+7] offset:2240 // lwoB_0_0_7_0 = (0*LSCB)*(MT1J+PAD) + (7*LSPB) = 2240
_ds_store_b32 v[vgprLocalWriteAddrB], v[vgprG2LB+8] offset:2560 // lwoB_0_0_8_0 = (0*LSCB)*(MT1J+PAD) + (8*LSPB) = 2560
_ds_store_b32 v[vgprLocalWriteAddrB], v[vgprG2LB+9] offset:2880 // lwoB_0_0_9_0 = (0*LSCB)*(MT1J+PAD) + (9*LSPB) = 2880
_ds_store_b32 v[vgprLocalWriteAddrB], v[vgprG2LB+10] offset:3200 // lwoB_0_0_10_0 = (0*LSCB)*(MT1J+PAD) + (10*LSPB) = 3200
_ds_store_b32 v[vgprLocalWriteAddrB], v[vgprG2LB+11] offset:3520 // lwoB_0_0_11_0 = (0*LSCB)*(MT1J+PAD) + (11*LSPB) = 3520
_ds_store_b32 v[vgprLocalWriteAddrB], v[vgprG2LB+12] offset:3840 // lwoB_0_0_12_0 = (0*LSCB)*(MT1J+PAD) + (12*LSPB) = 3840
_ds_store_b32 v[vgprLocalWriteAddrB], v[vgprG2LB+13] offset:4160 // lwoB_0_0_13_0 = (0*LSCB)*(MT1J+PAD) + (13*LSPB) = 4160
_ds_store_b32 v[vgprLocalWriteAddrB], v[vgprG2LB+14] offset:4480 // lwoB_0_0_14_0 = (0*LSCB)*(MT1J+PAD) + (14*LSPB) = 4480
_ds_store_b32 v[vgprLocalWriteAddrB], v[vgprG2LB+15] offset:4800 // lwoB_0_0_15_0 = (0*LSCB)*(MT1J+PAD) + (15*LSPB) = 4800
_ds_store_b32 v[vgprLocalWriteAddrB], v[vgprG2LB+16] offset:5120 // lwoB_0_0_16_0 = (0*LSCB)*(MT1J+PAD) + (16*LSPB) = 5120
_ds_store_b32 v[vgprLocalWriteAddrB], v[vgprG2LB+17] offset:5440 // lwoB_0_0_17_0 = (0*LSCB)*(MT1J+PAD) + (17*LSPB) = 5440
_ds_store_b32 v[vgprLocalWriteAddrB], v[vgprG2LB+18] offset:5760 // lwoB_0_0_18_0 = (0*LSCB)*(MT1J+PAD) + (18*LSPB) = 5760
_ds_store_b32 v[vgprLocalWriteAddrB], v[vgprG2LB+19] offset:6080 // lwoB_0_0_19_0 = (0*LSCB)*(MT1J+PAD) + (19*LSPB) = 6080
_ds_store_b32 v[vgprLocalWriteAddrB], v[vgprG2LB+20] offset:6400 // lwoB_0_0_20_0 = (0*LSCB)*(MT1J+PAD) + (20*LSPB) = 6400
_ds_store_b32 v[vgprLocalWriteAddrB], v[vgprG2LB+21] offset:6720 // lwoB_0_0_21_0 = (0*LSCB)*(MT1J+PAD) + (21*LSPB) = 6720
_ds_store_b32 v[vgprLocalWriteAddrB], v[vgprG2LB+22] offset:7040 // lwoB_0_0_22_0 = (0*LSCB)*(MT1J+PAD) + (22*LSPB) = 7040
_ds_store_b32 v[vgprLocalWriteAddrB], v[vgprG2LB+23] offset:7360 // lwoB_0_0_23_0 = (0*LSCB)*(MT1J+PAD) + (23*LSPB) = 7360
_ds_store_b32 v[vgprLocalWriteAddrB], v[vgprG2LB+24] offset:7680 // lwoB_0_0_24_0 = (0*LSCB)*(MT1J+PAD) + (24*LSPB) = 7680
_ds_store_b32 v[vgprLocalWriteAddrB], v[vgprG2LB+25] offset:8000 // lwoB_0_0_25_0 = (0*LSCB)*(MT1J+PAD) + (25*LSPB) = 8000
_ds_store_b32 v[vgprLocalWriteAddrB], v[vgprG2LB+26] offset:8320 // lwoB_0_0_26_0 = (0*LSCB)*(MT1J+PAD) + (26*LSPB) = 8320
_ds_store_b32 v[vgprLocalWriteAddrB], v[vgprG2LB+27] offset:8640 // lwoB_0_0_27_0 = (0*LSCB)*(MT1J+PAD) + (27*LSPB) = 8640
_ds_store_b32 v[vgprLocalWriteAddrB], v[vgprG2LB+28] offset:8960 // lwoB_0_0_28_0 = (0*LSCB)*(MT1J+PAD) + (28*LSPB) = 8960
_ds_store_b32 v[vgprLocalWriteAddrB], v[vgprG2LB+29] offset:9280 // lwoB_0_0_29_0 = (0*LSCB)*(MT1J+PAD) + (29*LSPB) = 9280
_ds_store_b32 v[vgprLocalWriteAddrB], v[vgprG2LB+30] offset:9600 // lwoB_0_0_30_0 = (0*LSCB)*(MT1J+PAD) + (30*LSPB) = 9600
_ds_store_b32 v[vgprLocalWriteAddrB], v[vgprG2LB+31] offset:9920 // lwoB_0_0_31_0 = (0*LSCB)*(MT1J+PAD) + (31*LSPB) = 9920


/* Recalc local read offsets */

/*lr0I*/
v_and_b32 v210, 63, v[vgprSerial]                  // 0. thread id in wave: wtid = tid % wavelength(64)
v_and_b32 v209, 15, v210                           // 1. N offset: nIdx = wtid % MI_N(16)
v_lshlrev_b32 v209, 0x6, v209                      // 1. N offset: nOffset = nIdx * nStride(64)
                                                   // 2. block offset: bnIdx = bnIdx % num1DBlocks(1) is 0. do nothing
                                                   // 4. apply VectorWidth: bnOffset = bnOffset * vw(1) (multiplier is 1, do nothing)
v_lshrrev_b32 v210, 4, v210                        // 5. K offset: kIdx = wtid / (MIN(16) * MIBB(1))
v_lshlrev_b32 v210, 0x2, v210                      // 5. K offset: lrKOffset = kIdx * mStride(4)
_v_add_u32 v209, v210, v209                        // 6. offset in wave: lrOffset = bnOffset + lrKOffset
/*lr1J*/
v_and_b32 v211, 63, v[vgprSerial]                  // 0. thread id in wave: wtid = tid % wavelength(64)
v_and_b32 v210, 15, v211                           // 1. N offset: nIdx = wtid % MI_N(16)
v_lshlrev_b32 v210, 0x6, v210                      // 1. N offset: nOffset = nIdx * nStride(64)
                                                   // 2. block offset: bnIdx = bnIdx % num1DBlocks(1) is 0. do nothing
v_lshlrev_b32 v210, 0x1, v210                      // 4. apply VectorWidth: bnOffset = bnOffset * vw(2)
v_lshrrev_b32 v211, 4, v211                        // 5. K offset: kIdx = wtid / (MIN(16) * MIBB(1))
v_lshlrev_b32 v211, 0x2, v211                      // 5. K offset: lrKOffset = kIdx * mStride(4)
_v_add_u32 v210, v211, v210                        // 6. offset in wave: lrOffset = bnOffset + lrKOffset
v_lshrrev_b32 v212, 6, v[vgprSerial]               // 7. wave offset in N dimen: wtid = tid / dividedForWaveId(64)
v_and_b32 v211, 3, v212                            // 7. wave offset in M dimen: wtid0 = wtid / num1DWaves(4)
v_lshlrev_b32 v211, 0xb, v211                      // 7. wave offset in M dimen: wOffset = wtid0 * W0Stride(2048)
_v_add_u32 v210, v211, v210                        // 8. final local read offset: flrOffset = lrOffset + WOffset
v_lshlrev_b32 v[vgprLocalReadAddrA], 0x1, v209     // Final Offset: offset = (lro0)*bpe
v_lshrrev_b32 v209, 7, v[vgprLocalReadAddrA]       // Final Offset: padding 16 per block 128
v_lshlrev_b32 v209, 0x5, v209                      // Final Offset: padding 16 per block 128
_v_add_u32 v[vgprLocalReadAddrA], v209, v[vgprLocalReadAddrA] // Final Offset: add padding 16 per block 128
/* N/A */
v_lshlrev_b32 v[vgprLocalReadAddrB], 0x1, v210     // Final Offset: offset = (lro1)*bpe
v_lshrrev_b32 v209, 7, v[vgprLocalReadAddrB]       // Final Offset: padding 16 per block 128
v_lshlrev_b32 v209, 0x5, v209                      // Final Offset: padding 16 per block 128
_v_add_u32 v[vgprLocalReadAddrB], v209, v[vgprLocalReadAddrB] // Final Offset: add padding 16 per block 128
_v_add_co_u32 v[vgprLocalReadAddrB+0], vcc, 0x5a00, v[vgprLocalReadAddrB+0] //  += LdsOffsetB (lower)

s_waitcnt lgkmcnt(0)                               // lgkmcnt=0 vmcnt=-15wait for local write

s_waitcnt lgkmcnt(0) & vmcnt(0)                    // force waitcnt0
s_barrier //


/* local read reset offsets a */


	;; [unrolled: 1-line block ×3, first 2 shown]
/* local read reset offsets b */



/* local read init pointers a */


/* localReadInitPointers */


/* local read init pointers b */


/* localReadInitPointers */


/* tail loop: macs */

TailLoopBeginL_6:


/* tail loop unroll iter 0 */


/* local read a */

_ds_load_b64 v[vgprValuA_X0_I0+0:vgprValuA_X0_I0+0+1], v[vgprLocalReadAddrA] offset:0 // L -> Reg lro=0 swapByteOffset=0 ti=16 vIdx=0 rIdx=0 oIdx=0 buffer=0 iui=0
_ds_load_b64 v[vgprValuA_X0_I0+2:vgprValuA_X0_I0+2+1], v[vgprLocalReadAddrA] offset:2560 // L -> Reg lro=0 swapByteOffset=0 ti=16 vIdx=1 rIdx=0 oIdx=0 buffer=0 iui=0
	;; [unrolled: 1-line block ×9, first 2 shown]


/* local read b */

_ds_load_b64 v[vgprValuB_X0_I0+0:vgprValuB_X0_I0+0+1], v[vgprLocalReadAddrB] offset:0 // L -> Reg lro=0 swapByteOffset=0 ti=128 vIdx=0 rIdx=0 oIdx=0 buffer=0 iui=0
_ds_load_b64 v[vgprValuB_X0_I0+2:vgprValuB_X0_I0+2+1], v[vgprLocalReadAddrB] offset:160 // L -> Reg lro=0 swapByteOffset=0 ti=128 vIdx=0 rIdx=0 oIdx=0 buffer=0 iui=0
	;; [unrolled: 1-line block ×4, first 2 shown]


/* local read inc a */

s_mov_b32 s56, 0x20                                // inc
_v_add_co_u32 v[vgprLocalReadAddrA], vcc, s56, v[vgprLocalReadAddrA] // lrA += 32 (LSU*bpe)


/* local read inc b */

s_mov_b32 s56, 0x20                                // inc
_v_add_co_u32 v[vgprLocalReadAddrB], vcc, s56, v[vgprLocalReadAddrB] // lrB += 32 (LSU*bpe)

s_waitcnt lgkmcnt(0)                               // lgkmcnt=0 vmcnt=-14wait for local read


	;; [unrolled: 1-line block ×3, first 2 shown]
/* tail loop mfma iter 0: numReadsIterCoalescedA=1, numReadsIterCoalescedB=1 */
v_and_b32 v209, 63, v[vgprSerial]                  // v209 = v[vgprSerial] % 64
v_lshrrev_b32 v209, 4, v209                        // v209 = v209 / 16
v_lshlrev_b32 v209, 0x2, v209                      // v209 = v209 * 4
v_cmp_ge_i32 s[56:57], v209, s[sgprLoopCounterL]   // check K index >= Size L
v_cndmask_b32 v[vgprValuA_X0_I0+0+0+0+0], v[vgprValuA_X0_I0+0+0+0+0], 0x0, s[56:57] // set 0 if K_idx >= sizeL
v_cndmask_b32 v[vgprValuA_X0_I0+2+0+0+0], v[vgprValuA_X0_I0+2+0+0+0], 0x0, s[56:57] // set 0 if K_idx >= sizeL
	;; [unrolled: 1-line block ×9, first 2 shown]
v_cndmask_b32 v[vgprValuB_X0_I0+0+0+0+0], v[vgprValuB_X0_I0+0+0+0+0], 0x0, s[56:57] // set 0 if K_idx >= sizeL
v_cndmask_b32 v[vgprValuB_X0_I0+2+0+0+0], v[vgprValuB_X0_I0+2+0+0+0], 0x0, s[56:57] // set 0 if K_idx >= sizeL
	;; [unrolled: 1-line block ×4, first 2 shown]
v_cndmask_b32 v[vgprValuA_X0_I0+0+0+0+1], v[vgprValuA_X0_I0+0+0+0+1], 0x0, s[56:57] // set 0 if K_idx >= sizeL
v_cndmask_b32 v[vgprValuA_X0_I0+2+0+0+1], v[vgprValuA_X0_I0+2+0+0+1], 0x0, s[56:57] // set 0 if K_idx >= sizeL
	;; [unrolled: 1-line block ×9, first 2 shown]
v_cndmask_b32 v[vgprValuB_X0_I0+0+0+0+1], v[vgprValuB_X0_I0+0+0+0+1], 0x0, s[56:57] // set 0 if K_idx >= sizeL
v_cndmask_b32 v[vgprValuB_X0_I0+2+0+0+1], v[vgprValuB_X0_I0+2+0+0+1], 0x0, s[56:57] // set 0 if K_idx >= sizeL
	;; [unrolled: 1-line block ×4, first 2 shown]
_v_sub_u32 v209, s[sgprLoopCounterL], v209         // get distance between size and k index
v_cmp_lt_i32 s[56:57], v209, 4                     // set partial 0 if distance less than input per thread
s_and_b32 s58, s[sgprLoopCounterL], 3              // get inputs for edge thread
s_sub_u32 s58, 4, s58                              // use shift to fill 0 for outside element
s_lshl_b32 s58, s58, 4                             // use shift to fill 0 for outside element
v_mov_b32 v210, -1                                 // set 0xffffffff
v_mov_b32 v211, -1                                 // set 0xffffffff
v_lshrrev_b64 v[210:211], s58, v[210:211]          // rshift mask for partial k
v_cndmask_b32 v210, -1, v210, s[56:57]             // select shifted mask for partial k
v_cndmask_b32 v211, -1, v211, s[56:57]             // select shifted mask for partial k
v_and_b32 v[vgprValuA_X0_I0+0+0+0+0], v[vgprValuA_X0_I0+0+0+0+0], v210 // 
v_and_b32 v[vgprValuA_X0_I0+0+0+0+1], v[vgprValuA_X0_I0+0+0+0+1], v211 // 
	;; [unrolled: 1-line block ×18, first 2 shown]
v_and_b32 v[vgprValuB_X0_I0+0+0+0+0], v[vgprValuB_X0_I0+0+0+0+0], v210 // 
v_and_b32 v[vgprValuB_X0_I0+0+0+0+1], v[vgprValuB_X0_I0+0+0+0+1], v211 // 
	;; [unrolled: 1-line block ×8, first 2 shown]
s_nop 1
v_mfma_f32_16x16x16f16 a[0+0:3+0], v[vgprValuA_X0_I0+0+0+0:vgprValuA_X0_I0+0+0+0+1], v[vgprValuB_X0_I0+0+0+0:vgprValuB_X0_I0+0+0+0+1], a[0:3]
v_mfma_f32_16x16x16f16 a[4+0:7+0], v[vgprValuA_X0_I0+2+0+0:vgprValuA_X0_I0+2+0+0+1], v[vgprValuB_X0_I0+0+0+0:vgprValuB_X0_I0+0+0+0+1], a[4:7]
	;; [unrolled: 1-line block ×36, first 2 shown]


/* closeLoop loopL finalLoop=0 tailLoop=1 */
s_sub_i32 s[sgprLoopCounterL], s[sgprLoopCounterL], 0x10 // dec counterL (tailLoop)
s_add_u32 s[sgprOrigLoopCounter], s[sgprOrigLoopCounter], 0x10 // inc counterL
s_cmp_le_i32 s[sgprLoopCounterL], 0x0              // counterL<=0
s_cbranch_scc1 TailLoopEndL_7                      // exit LoopL


/* tail loop unroll iter 1 */


/* local read a */

_ds_load_b64 v[vgprValuA_X1_I0+0:vgprValuA_X1_I0+0+1], v[vgprLocalReadAddrA] offset:0 // L -> Reg lro=0 swapByteOffset=0 ti=16 vIdx=0 rIdx=0 oIdx=0 buffer=1 iui=0
_ds_load_b64 v[vgprValuA_X1_I0+2:vgprValuA_X1_I0+2+1], v[vgprLocalReadAddrA] offset:2560 // L -> Reg lro=0 swapByteOffset=0 ti=16 vIdx=1 rIdx=0 oIdx=0 buffer=1 iui=0
	;; [unrolled: 1-line block ×9, first 2 shown]


/* local read b */

_ds_load_b64 v[vgprValuB_X1_I0+0:vgprValuB_X1_I0+0+1], v[vgprLocalReadAddrB] offset:0 // L -> Reg lro=0 swapByteOffset=0 ti=128 vIdx=0 rIdx=0 oIdx=0 buffer=1 iui=0
_ds_load_b64 v[vgprValuB_X1_I0+2:vgprValuB_X1_I0+2+1], v[vgprLocalReadAddrB] offset:160 // L -> Reg lro=0 swapByteOffset=0 ti=128 vIdx=0 rIdx=0 oIdx=0 buffer=1 iui=0
	;; [unrolled: 1-line block ×4, first 2 shown]


/* local read inc a */

s_mov_b32 s56, 0x20                                // inc
_v_add_co_u32 v[vgprLocalReadAddrA], vcc, s56, v[vgprLocalReadAddrA] // lrA += 32 (LSU*bpe)


/* local read inc b */

s_mov_b32 s56, 0x20                                // inc
_v_add_co_u32 v[vgprLocalReadAddrB], vcc, s56, v[vgprLocalReadAddrB] // lrB += 32 (LSU*bpe)

s_waitcnt lgkmcnt(0)                               // lgkmcnt=0 vmcnt=-14wait for local read


	;; [unrolled: 1-line block ×3, first 2 shown]
/* tail loop mfma iter 1: numReadsIterCoalescedA=1, numReadsIterCoalescedB=1 */
v_and_b32 v209, 63, v[vgprSerial]                  // v209 = v[vgprSerial] % 64
v_lshrrev_b32 v209, 4, v209                        // v209 = v209 / 16
v_lshlrev_b32 v209, 0x2, v209                      // v209 = v209 * 4
v_cmp_ge_i32 s[56:57], v209, s[sgprLoopCounterL]   // check K index >= Size L
v_cndmask_b32 v[vgprValuA_X1_I0+0+0+0+0], v[vgprValuA_X1_I0+0+0+0+0], 0x0, s[56:57] // set 0 if K_idx >= sizeL
v_cndmask_b32 v[vgprValuA_X1_I0+2+0+0+0], v[vgprValuA_X1_I0+2+0+0+0], 0x0, s[56:57] // set 0 if K_idx >= sizeL
v_cndmask_b32 v[vgprValuA_X1_I0+4+0+0+0], v[vgprValuA_X1_I0+4+0+0+0], 0x0, s[56:57] // set 0 if K_idx >= sizeL
v_cndmask_b32 v[vgprValuA_X1_I0+6+0+0+0], v[vgprValuA_X1_I0+6+0+0+0], 0x0, s[56:57] // set 0 if K_idx >= sizeL
v_cndmask_b32 v[vgprValuA_X1_I0+8+0+0+0], v[vgprValuA_X1_I0+8+0+0+0], 0x0, s[56:57] // set 0 if K_idx >= sizeL
v_cndmask_b32 v[vgprValuA_X1_I0+10+0+0+0], v[vgprValuA_X1_I0+10+0+0+0], 0x0, s[56:57] // set 0 if K_idx >= sizeL
v_cndmask_b32 v[vgprValuA_X1_I0+12+0+0+0], v[vgprValuA_X1_I0+12+0+0+0], 0x0, s[56:57] // set 0 if K_idx >= sizeL
v_cndmask_b32 v[vgprValuA_X1_I0+14+0+0+0], v[vgprValuA_X1_I0+14+0+0+0], 0x0, s[56:57] // set 0 if K_idx >= sizeL
v_cndmask_b32 v[vgprValuA_X1_I0+16+0+0+0], v[vgprValuA_X1_I0+16+0+0+0], 0x0, s[56:57] // set 0 if K_idx >= sizeL
v_cndmask_b32 v[vgprValuB_X1_I0+0+0+0+0], v[vgprValuB_X1_I0+0+0+0+0], 0x0, s[56:57] // set 0 if K_idx >= sizeL
v_cndmask_b32 v[vgprValuB_X1_I0+2+0+0+0], v[vgprValuB_X1_I0+2+0+0+0], 0x0, s[56:57] // set 0 if K_idx >= sizeL
	;; [unrolled: 1-line block ×4, first 2 shown]
v_cndmask_b32 v[vgprValuA_X1_I0+0+0+0+1], v[vgprValuA_X1_I0+0+0+0+1], 0x0, s[56:57] // set 0 if K_idx >= sizeL
v_cndmask_b32 v[vgprValuA_X1_I0+2+0+0+1], v[vgprValuA_X1_I0+2+0+0+1], 0x0, s[56:57] // set 0 if K_idx >= sizeL
	;; [unrolled: 1-line block ×9, first 2 shown]
v_cndmask_b32 v[vgprValuB_X1_I0+0+0+0+1], v[vgprValuB_X1_I0+0+0+0+1], 0x0, s[56:57] // set 0 if K_idx >= sizeL
v_cndmask_b32 v[vgprValuB_X1_I0+2+0+0+1], v[vgprValuB_X1_I0+2+0+0+1], 0x0, s[56:57] // set 0 if K_idx >= sizeL
	;; [unrolled: 1-line block ×4, first 2 shown]
_v_sub_u32 v209, s[sgprLoopCounterL], v209         // get distance between size and k index
v_cmp_lt_i32 s[56:57], v209, 4                     // set partial 0 if distance less than input per thread
s_and_b32 s58, s[sgprLoopCounterL], 3              // get inputs for edge thread
s_sub_u32 s58, 4, s58                              // use shift to fill 0 for outside element
s_lshl_b32 s58, s58, 4                             // use shift to fill 0 for outside element
v_mov_b32 v210, -1                                 // set 0xffffffff
v_mov_b32 v211, -1                                 // set 0xffffffff
v_lshrrev_b64 v[210:211], s58, v[210:211]          // rshift mask for partial k
v_cndmask_b32 v210, -1, v210, s[56:57]             // select shifted mask for partial k
v_cndmask_b32 v211, -1, v211, s[56:57]             // select shifted mask for partial k
v_and_b32 v[vgprValuA_X1_I0+0+0+0+0], v[vgprValuA_X1_I0+0+0+0+0], v210 // 
v_and_b32 v[vgprValuA_X1_I0+0+0+0+1], v[vgprValuA_X1_I0+0+0+0+1], v211 // 
	;; [unrolled: 1-line block ×18, first 2 shown]
v_and_b32 v[vgprValuB_X1_I0+0+0+0+0], v[vgprValuB_X1_I0+0+0+0+0], v210 // 
v_and_b32 v[vgprValuB_X1_I0+0+0+0+1], v[vgprValuB_X1_I0+0+0+0+1], v211 // 
	;; [unrolled: 1-line block ×8, first 2 shown]
s_nop 1
v_mfma_f32_16x16x16f16 a[0+0:3+0], v[vgprValuA_X1_I0+0+0+0:vgprValuA_X1_I0+0+0+0+1], v[vgprValuB_X1_I0+0+0+0:vgprValuB_X1_I0+0+0+0+1], a[0:3]
v_mfma_f32_16x16x16f16 a[4+0:7+0], v[vgprValuA_X1_I0+2+0+0:vgprValuA_X1_I0+2+0+0+1], v[vgprValuB_X1_I0+0+0+0:vgprValuB_X1_I0+0+0+0+1], a[4:7]
	;; [unrolled: 1-line block ×36, first 2 shown]


/* closeLoop loopL finalLoop=0 tailLoop=1 */
s_sub_i32 s[sgprLoopCounterL], s[sgprLoopCounterL], 0x10 // dec counterL (tailLoop)
s_add_u32 s[sgprOrigLoopCounter], s[sgprOrigLoopCounter], 0x10 // inc counterL
s_cmp_le_i32 s[sgprLoopCounterL], 0x0              // counterL<=0
s_cbranch_scc1 TailLoopEndL_7                      // exit LoopL


/* tail loop unroll iter 2 */


/* local read a */

_ds_load_b64 v[vgprValuA_X2_I0+0:vgprValuA_X2_I0+0+1], v[vgprLocalReadAddrA] offset:0 // L -> Reg lro=0 swapByteOffset=0 ti=16 vIdx=0 rIdx=0 oIdx=0 buffer=2 iui=0
_ds_load_b64 v[vgprValuA_X2_I0+2:vgprValuA_X2_I0+2+1], v[vgprLocalReadAddrA] offset:2560 // L -> Reg lro=0 swapByteOffset=0 ti=16 vIdx=1 rIdx=0 oIdx=0 buffer=2 iui=0
	;; [unrolled: 1-line block ×9, first 2 shown]


/* local read b */

_ds_load_b64 v[vgprValuB_X2_I0+0:vgprValuB_X2_I0+0+1], v[vgprLocalReadAddrB] offset:0 // L -> Reg lro=0 swapByteOffset=0 ti=128 vIdx=0 rIdx=0 oIdx=0 buffer=2 iui=0
_ds_load_b64 v[vgprValuB_X2_I0+2:vgprValuB_X2_I0+2+1], v[vgprLocalReadAddrB] offset:160 // L -> Reg lro=0 swapByteOffset=0 ti=128 vIdx=0 rIdx=0 oIdx=0 buffer=2 iui=0
	;; [unrolled: 1-line block ×4, first 2 shown]


/* local read inc a */

s_mov_b32 s56, 0x20                                // inc
_v_add_co_u32 v[vgprLocalReadAddrA], vcc, s56, v[vgprLocalReadAddrA] // lrA += 32 (LSU*bpe)


/* local read inc b */

s_mov_b32 s56, 0x20                                // inc
_v_add_co_u32 v[vgprLocalReadAddrB], vcc, s56, v[vgprLocalReadAddrB] // lrB += 32 (LSU*bpe)

s_waitcnt lgkmcnt(0)                               // lgkmcnt=0 vmcnt=-14wait for local read


	;; [unrolled: 1-line block ×3, first 2 shown]
/* tail loop mfma iter 2: numReadsIterCoalescedA=1, numReadsIterCoalescedB=1 */
v_and_b32 v209, 63, v[vgprSerial]                  // v209 = v[vgprSerial] % 64
v_lshrrev_b32 v209, 4, v209                        // v209 = v209 / 16
v_lshlrev_b32 v209, 0x2, v209                      // v209 = v209 * 4
v_cmp_ge_i32 s[56:57], v209, s[sgprLoopCounterL]   // check K index >= Size L
v_cndmask_b32 v[vgprValuA_X2_I0+0+0+0+0], v[vgprValuA_X2_I0+0+0+0+0], 0x0, s[56:57] // set 0 if K_idx >= sizeL
v_cndmask_b32 v[vgprValuA_X2_I0+2+0+0+0], v[vgprValuA_X2_I0+2+0+0+0], 0x0, s[56:57] // set 0 if K_idx >= sizeL
	;; [unrolled: 1-line block ×9, first 2 shown]
v_cndmask_b32 v[vgprValuB_X2_I0+0+0+0+0], v[vgprValuB_X2_I0+0+0+0+0], 0x0, s[56:57] // set 0 if K_idx >= sizeL
v_cndmask_b32 v[vgprValuB_X2_I0+2+0+0+0], v[vgprValuB_X2_I0+2+0+0+0], 0x0, s[56:57] // set 0 if K_idx >= sizeL
	;; [unrolled: 1-line block ×4, first 2 shown]
v_cndmask_b32 v[vgprValuA_X2_I0+0+0+0+1], v[vgprValuA_X2_I0+0+0+0+1], 0x0, s[56:57] // set 0 if K_idx >= sizeL
v_cndmask_b32 v[vgprValuA_X2_I0+2+0+0+1], v[vgprValuA_X2_I0+2+0+0+1], 0x0, s[56:57] // set 0 if K_idx >= sizeL
	;; [unrolled: 1-line block ×9, first 2 shown]
v_cndmask_b32 v[vgprValuB_X2_I0+0+0+0+1], v[vgprValuB_X2_I0+0+0+0+1], 0x0, s[56:57] // set 0 if K_idx >= sizeL
v_cndmask_b32 v[vgprValuB_X2_I0+2+0+0+1], v[vgprValuB_X2_I0+2+0+0+1], 0x0, s[56:57] // set 0 if K_idx >= sizeL
	;; [unrolled: 1-line block ×4, first 2 shown]
_v_sub_u32 v209, s[sgprLoopCounterL], v209         // get distance between size and k index
v_cmp_lt_i32 s[56:57], v209, 4                     // set partial 0 if distance less than input per thread
s_and_b32 s58, s[sgprLoopCounterL], 3              // get inputs for edge thread
s_sub_u32 s58, 4, s58                              // use shift to fill 0 for outside element
s_lshl_b32 s58, s58, 4                             // use shift to fill 0 for outside element
v_mov_b32 v210, -1                                 // set 0xffffffff
v_mov_b32 v211, -1                                 // set 0xffffffff
v_lshrrev_b64 v[210:211], s58, v[210:211]          // rshift mask for partial k
v_cndmask_b32 v210, -1, v210, s[56:57]             // select shifted mask for partial k
v_cndmask_b32 v211, -1, v211, s[56:57]             // select shifted mask for partial k
v_and_b32 v[vgprValuA_X2_I0+0+0+0+0], v[vgprValuA_X2_I0+0+0+0+0], v210 // 
v_and_b32 v[vgprValuA_X2_I0+0+0+0+1], v[vgprValuA_X2_I0+0+0+0+1], v211 // 
	;; [unrolled: 1-line block ×18, first 2 shown]
v_and_b32 v[vgprValuB_X2_I0+0+0+0+0], v[vgprValuB_X2_I0+0+0+0+0], v210 // 
v_and_b32 v[vgprValuB_X2_I0+0+0+0+1], v[vgprValuB_X2_I0+0+0+0+1], v211 // 
	;; [unrolled: 1-line block ×8, first 2 shown]
s_nop 1
v_mfma_f32_16x16x16f16 a[0+0:3+0], v[vgprValuA_X2_I0+0+0+0:vgprValuA_X2_I0+0+0+0+1], v[vgprValuB_X2_I0+0+0+0:vgprValuB_X2_I0+0+0+0+1], a[0:3]
v_mfma_f32_16x16x16f16 a[4+0:7+0], v[vgprValuA_X2_I0+2+0+0:vgprValuA_X2_I0+2+0+0+1], v[vgprValuB_X2_I0+0+0+0:vgprValuB_X2_I0+0+0+0+1], a[4:7]
	;; [unrolled: 1-line block ×36, first 2 shown]


/* closeLoop loopL finalLoop=0 tailLoop=1 */
s_sub_i32 s[sgprLoopCounterL], s[sgprLoopCounterL], 0x10 // dec counterL (tailLoop)
s_add_u32 s[sgprOrigLoopCounter], s[sgprOrigLoopCounter], 0x10 // inc counterL
s_cmp_le_i32 s[sgprLoopCounterL], 0x0              // counterL<=0
s_cbranch_scc1 TailLoopEndL_7                      // exit LoopL


/* tail loop unroll iter 3 */


/* local read a */

_ds_load_b64 v[vgprValuA_X3_I0+0:vgprValuA_X3_I0+0+1], v[vgprLocalReadAddrA] offset:0 // L -> Reg lro=0 swapByteOffset=0 ti=16 vIdx=0 rIdx=0 oIdx=0 buffer=3 iui=0
_ds_load_b64 v[vgprValuA_X3_I0+2:vgprValuA_X3_I0+2+1], v[vgprLocalReadAddrA] offset:2560 // L -> Reg lro=0 swapByteOffset=0 ti=16 vIdx=1 rIdx=0 oIdx=0 buffer=3 iui=0
	;; [unrolled: 1-line block ×9, first 2 shown]


/* local read b */

_ds_load_b64 v[vgprValuB_X3_I0+0:vgprValuB_X3_I0+0+1], v[vgprLocalReadAddrB] offset:0 // L -> Reg lro=0 swapByteOffset=0 ti=128 vIdx=0 rIdx=0 oIdx=0 buffer=3 iui=0
_ds_load_b64 v[vgprValuB_X3_I0+2:vgprValuB_X3_I0+2+1], v[vgprLocalReadAddrB] offset:160 // L -> Reg lro=0 swapByteOffset=0 ti=128 vIdx=0 rIdx=0 oIdx=0 buffer=3 iui=0
	;; [unrolled: 1-line block ×4, first 2 shown]


/* local read inc a */

s_mov_b32 s56, 0x40                                // inc
_v_add_co_u32 v[vgprLocalReadAddrA], vcc, s56, v[vgprLocalReadAddrA] // lrA += 64 (LSU*bpe)


/* local read inc b */

s_mov_b32 s56, 0x40                                // inc
_v_add_co_u32 v[vgprLocalReadAddrB], vcc, s56, v[vgprLocalReadAddrB] // lrB += 64 (LSU*bpe)

s_waitcnt lgkmcnt(0)                               // lgkmcnt=0 vmcnt=-14wait for local read


	;; [unrolled: 1-line block ×3, first 2 shown]
/* tail loop mfma iter 3: numReadsIterCoalescedA=1, numReadsIterCoalescedB=1 */
v_and_b32 v209, 63, v[vgprSerial]                  // v209 = v[vgprSerial] % 64
v_lshrrev_b32 v209, 4, v209                        // v209 = v209 / 16
v_lshlrev_b32 v209, 0x2, v209                      // v209 = v209 * 4
v_cmp_ge_i32 s[56:57], v209, s[sgprLoopCounterL]   // check K index >= Size L
v_cndmask_b32 v[vgprValuA_X3_I0+0+0+0+0], v[vgprValuA_X3_I0+0+0+0+0], 0x0, s[56:57] // set 0 if K_idx >= sizeL
v_cndmask_b32 v[vgprValuA_X3_I0+2+0+0+0], v[vgprValuA_X3_I0+2+0+0+0], 0x0, s[56:57] // set 0 if K_idx >= sizeL
	;; [unrolled: 1-line block ×9, first 2 shown]
v_cndmask_b32 v[vgprValuB_X3_I0+0+0+0+0], v[vgprValuB_X3_I0+0+0+0+0], 0x0, s[56:57] // set 0 if K_idx >= sizeL
v_cndmask_b32 v[vgprValuB_X3_I0+2+0+0+0], v[vgprValuB_X3_I0+2+0+0+0], 0x0, s[56:57] // set 0 if K_idx >= sizeL
	;; [unrolled: 1-line block ×4, first 2 shown]
v_cndmask_b32 v[vgprValuA_X3_I0+0+0+0+1], v[vgprValuA_X3_I0+0+0+0+1], 0x0, s[56:57] // set 0 if K_idx >= sizeL
v_cndmask_b32 v[vgprValuA_X3_I0+2+0+0+1], v[vgprValuA_X3_I0+2+0+0+1], 0x0, s[56:57] // set 0 if K_idx >= sizeL
	;; [unrolled: 1-line block ×9, first 2 shown]
v_cndmask_b32 v[vgprValuB_X3_I0+0+0+0+1], v[vgprValuB_X3_I0+0+0+0+1], 0x0, s[56:57] // set 0 if K_idx >= sizeL
v_cndmask_b32 v[vgprValuB_X3_I0+2+0+0+1], v[vgprValuB_X3_I0+2+0+0+1], 0x0, s[56:57] // set 0 if K_idx >= sizeL
	;; [unrolled: 1-line block ×4, first 2 shown]
_v_sub_u32 v209, s[sgprLoopCounterL], v209         // get distance between size and k index
v_cmp_lt_i32 s[56:57], v209, 4                     // set partial 0 if distance less than input per thread
s_and_b32 s58, s[sgprLoopCounterL], 3              // get inputs for edge thread
s_sub_u32 s58, 4, s58                              // use shift to fill 0 for outside element
s_lshl_b32 s58, s58, 4                             // use shift to fill 0 for outside element
v_mov_b32 v210, -1                                 // set 0xffffffff
v_mov_b32 v211, -1                                 // set 0xffffffff
v_lshrrev_b64 v[210:211], s58, v[210:211]          // rshift mask for partial k
v_cndmask_b32 v210, -1, v210, s[56:57]             // select shifted mask for partial k
v_cndmask_b32 v211, -1, v211, s[56:57]             // select shifted mask for partial k
v_and_b32 v[vgprValuA_X3_I0+0+0+0+0], v[vgprValuA_X3_I0+0+0+0+0], v210 // 
v_and_b32 v[vgprValuA_X3_I0+0+0+0+1], v[vgprValuA_X3_I0+0+0+0+1], v211 // 
	;; [unrolled: 1-line block ×18, first 2 shown]
v_and_b32 v[vgprValuB_X3_I0+0+0+0+0], v[vgprValuB_X3_I0+0+0+0+0], v210 // 
v_and_b32 v[vgprValuB_X3_I0+0+0+0+1], v[vgprValuB_X3_I0+0+0+0+1], v211 // 
	;; [unrolled: 1-line block ×8, first 2 shown]
s_nop 1
v_mfma_f32_16x16x16f16 a[0+0:3+0], v[vgprValuA_X3_I0+0+0+0:vgprValuA_X3_I0+0+0+0+1], v[vgprValuB_X3_I0+0+0+0:vgprValuB_X3_I0+0+0+0+1], a[0:3]
v_mfma_f32_16x16x16f16 a[4+0:7+0], v[vgprValuA_X3_I0+2+0+0:vgprValuA_X3_I0+2+0+0+1], v[vgprValuB_X3_I0+0+0+0:vgprValuB_X3_I0+0+0+0+1], a[4:7]
	;; [unrolled: 1-line block ×36, first 2 shown]


/* closeLoop loopL finalLoop=1 tailLoop=1 */
s_sub_i32 s[sgprLoopCounterL], s[sgprLoopCounterL], 0x10 // dec counterL (tailLoop)
s_add_u32 s[sgprOrigLoopCounter], s[sgprOrigLoopCounter], 0x10 // inc counterL
s_cmp_le_i32 s[sgprLoopCounterL], 0x0              // counterL<=0
s_cbranch_scc0 TailLoopBeginL_6                    // restart LoopL
TailLoopEndL_7:

SkipTailLoopL_8:

Summation_End_28:
/* endSummation: add vgpr [0...206) to pool */
.set NumFullBlocks, UNDEF
.set WgmRemainder1, UNDEF
.set MagicNumberWgmRemainder1, UNDEF

/* Mapping of Acc register -> C Vgpr register */


	;; [unrolled: 1-line block ×3, first 2 shown]
/* not-LocalSplitU: global write indices */

/* computeStoreVgprs */
v_lshrrev_b32 v4, 6, v[vgprSerial]                 // v4 = v[vgprSerial] / 64
v_lshrrev_b32 v1, 0, v4                            // v1 = v4 / 1
v_mul_lo_u32 v1, 0x10, v1                          // wave coordination offset 1
v_and_b32 v5, 15, v[vgprSerial]                    // v5 = v[vgprSerial] % 16
_v_add_lshl_u32 v1, v5, v1, 1                      // coordination 1 = vwb *(wave_id1 + tid1)
v_mul_lo_u32 v2, v1, s[sgprStrideC1J]              //  offset 1
v_mul_lo_u32 v3, v1, s[sgprStrideD1J]              //  offset 1
v_and_b32 v0, 63, v[vgprSerial]                    // v0 = v[vgprSerial] % 64
v_lshrrev_b32 v0, 4, v0                            // v0 = v0 / 16
v_lshlrev_b32 v0, 0x2, v0                          // thread0 * continuous_output
v_and_b32 v5, 0, v4                                // v5 = v4 % 1
v_mul_lo_u32 v5, 0x10, v5                          // wave coordination offset 0
_v_add_lshl_u32 v0, v5, v0, 0                      // coordination 0 = vwa *(wave_id0 + tid0)
s_mul_i32 s53, 144, s[sgprWorkGroup0]              // wgp0 * MT0
_v_add_u32 v0, s53, v0                             // coord 0 = (tid0/MI_m)*4 + waveG0*MIB_m + MT0*SG0
s_mul_i32 s53, 256, s[sgprWorkGroup1]              // wgp1 * MT1
_v_add_u32 v1, s53, v1                             // coord 1 = (tid0%MI_m) + waveG1*MIB_n + MT1*SG1


/* not-LocalSplitU: global write */

s_cmpk_eq_u32 s[sgprBeta], 0x0                     // Beta == 0
s_cbranch_scc0 GW_Beta_43                          // Branch if Beta is not zero

s_mov_b32 s57, 0x0                                 // STATIC_DIV: divisior=144
s_mul_i32 s56, 0x38e, s[sgprSizeI]                 // tmp1 = dividend * magic hi
s_lshl_b64 s[56:57], s[56:57], 0x10                // left shift 16 bits
s_mul_i32 s55, s[sgprSizeI], 0x38e4                // tmp0 = dividend * magic lo
s_add_u32 s56, s55, s56                            // add lo
s_addc_u32 s57, s57, 0x0                           // add hi
s_lshr_b64 s[56:57], s[56:57], 0x21                // tmp1 = (dividend * magic) << shift
s_mov_b32 s55, s56                                 // quotient
s_mul_i32 s56, s55, 0x90                           // quotient*divisor
s_sub_u32 s54, s[sgprSizeI], s56                   // rReg = dividend - quotient*divisor
s_add_u32 s55, -0x1, s[sgprNumWorkGroups0]         // 
s_cmp_ge_u32 s[sgprWorkGroup0], s55                // wg0 >= nwg0-1 ?
s_cselect_b32 s54, s54, 0                          // set rMT0
s_cmpk_gt_u32 s54, 0x0                             // rMT0 > 0
s_cbranch_scc1 GW_B0_E1_34                         // jump if edges required
s_and_b32 s54, 255, s[sgprSizeJ]                   // s54 = s[sgprSizeJ] % 256
s_add_u32 s55, -0x1, s[sgprNumWorkGroups1]         // 
s_cmp_ge_u32 s[sgprWorkGroup1], s55                // wg1 >= nwg1-1
s_cselect_b32 s54, s54, 0                          // set rMT1
s_cmpk_gt_u32 s54, 0x0                             // rMT1 > 0
s_cbranch_scc1 GW_B0_E1_34                         // jump if edges required
GW_B0_E0_31:

/* edge=0, allocate 2 sgpr. perBatchTmpS=2 perBatchMaskS=0 perElementMaskS=0 elementsPerBatch=60 */
/* optSingleColVgpr=1 optSharedColVgpr=0 optSGPRUsage=BufferLoad_Mask optSrdIncForRow=1 */

/******************************************/
/* Global Write Alpha Batch #0 (d1,d0,vc1,vc0) = */
/*    (0,0,0,0:vw4); (0,1,0,0:vw4); (0,2,0,0:vw4); (0,3,0,0:vw4); (0,4,0,0:vw4); (0,5,0,0:vw4); (0,6,0,0:vw4); (0,7,0,0:vw4); (0,8,0,0:vw4); (0,0,1,0:vw4); (0,1,1,0:vw4); (0,2,1,0:vw4); (0,3,1,0:vw4); (0,4,1,0:vw4); (0,5,1,0:vw4); (0,6,1,0:vw4); (0,7,1,0:vw4); (0,8,1,0:vw4); (1,0,0,0:vw4); (1,1,0,0:vw4); (1,2,0,0:vw4); (1,3,0,0:vw4); (1,4,0,0:vw4); (1,5,0,0:vw4); (1,6,0,0:vw4); (1,7,0,0:vw4); (1,8,0,0:vw4); (1,0,1,0:vw4); (1,1,1,0:vw4); (1,2,1,0:vw4); (1,3,1,0:vw4); (1,4,1,0:vw4); (1,5,1,0:vw4); (1,6,1,0:vw4); (1,7,1,0:vw4); (1,8,1,0:vw4) */
/******************************************/

/* calc coords, apply mask, and issue loads (if necessary) */
/* (d1,vc1,d0,vc0)=(0,0,0,0) */
/* (d1,vc1,d0,vc0)=(0,0,1,0) */
	;; [unrolled: 1-line block ×36, first 2 shown]
_v_add_lshl_u32 v6, v3, v0, 0x1                    // optSingleColVgpr scaleToBpe: sharedAddrVgpr <- cinRowPtr + coord0, scaled by BPE. BSHERE:coord0=0, coord0Vgpr=0
v_accvgpr_read_b32 v[vgprValuC+8], acc0 // copy acc to vreg[0]
v_accvgpr_read_b32 v[vgprValuC+9], acc1 // copy acc to vreg[1]
v_accvgpr_read_b32 v[vgprValuC+10], acc2 // copy acc to vreg[2]
v_accvgpr_read_b32 v[vgprValuC+11], acc3 // copy acc to vreg[3]
v_accvgpr_read_b32 v[vgprValuC+12], acc4 // copy acc to vreg[4]
v_accvgpr_read_b32 v[vgprValuC+13], acc5 // copy acc to vreg[5]
v_accvgpr_read_b32 v[vgprValuC+14], acc6 // copy acc to vreg[6]
v_accvgpr_read_b32 v[vgprValuC+15], acc7 // copy acc to vreg[7]
v_accvgpr_read_b32 v[vgprValuC+16], acc8 // copy acc to vreg[8]
v_accvgpr_read_b32 v[vgprValuC+17], acc9 // copy acc to vreg[9]
v_accvgpr_read_b32 v[vgprValuC+18], acc10 // copy acc to vreg[10]
v_accvgpr_read_b32 v[vgprValuC+19], acc11 // copy acc to vreg[11]
v_accvgpr_read_b32 v[vgprValuC+20], acc12 // copy acc to vreg[12]
v_accvgpr_read_b32 v[vgprValuC+21], acc13 // copy acc to vreg[13]
v_accvgpr_read_b32 v[vgprValuC+22], acc14 // copy acc to vreg[14]
v_accvgpr_read_b32 v[vgprValuC+23], acc15 // copy acc to vreg[15]
v_accvgpr_read_b32 v[vgprValuC+24], acc16 // copy acc to vreg[16]
v_accvgpr_read_b32 v[vgprValuC+25], acc17 // copy acc to vreg[17]
v_accvgpr_read_b32 v[vgprValuC+26], acc18 // copy acc to vreg[18]
v_accvgpr_read_b32 v[vgprValuC+27], acc19 // copy acc to vreg[19]
v_accvgpr_read_b32 v[vgprValuC+28], acc20 // copy acc to vreg[20]
v_accvgpr_read_b32 v[vgprValuC+29], acc21 // copy acc to vreg[21]
v_accvgpr_read_b32 v[vgprValuC+30], acc22 // copy acc to vreg[22]
v_accvgpr_read_b32 v[vgprValuC+31], acc23 // copy acc to vreg[23]
v_accvgpr_read_b32 v[vgprValuC+32], acc24 // copy acc to vreg[24]
v_accvgpr_read_b32 v[vgprValuC+33], acc25 // copy acc to vreg[25]
v_accvgpr_read_b32 v[vgprValuC+34], acc26 // copy acc to vreg[26]
v_accvgpr_read_b32 v[vgprValuC+35], acc27 // copy acc to vreg[27]
v_accvgpr_read_b32 v[vgprValuC+36], acc28 // copy acc to vreg[28]
v_accvgpr_read_b32 v[vgprValuC+37], acc29 // copy acc to vreg[29]
v_accvgpr_read_b32 v[vgprValuC+38], acc30 // copy acc to vreg[30]
v_accvgpr_read_b32 v[vgprValuC+39], acc31 // copy acc to vreg[31]
v_accvgpr_read_b32 v[vgprValuC+40], acc32 // copy acc to vreg[32]
v_accvgpr_read_b32 v[vgprValuC+41], acc33 // copy acc to vreg[33]
v_accvgpr_read_b32 v[vgprValuC+42], acc34 // copy acc to vreg[34]
v_accvgpr_read_b32 v[vgprValuC+43], acc35 // copy acc to vreg[35]
v_accvgpr_read_b32 v[vgprValuC+44], acc36 // copy acc to vreg[36]
v_accvgpr_read_b32 v[vgprValuC+45], acc37 // copy acc to vreg[37]
v_accvgpr_read_b32 v[vgprValuC+46], acc38 // copy acc to vreg[38]
v_accvgpr_read_b32 v[vgprValuC+47], acc39 // copy acc to vreg[39]
v_accvgpr_read_b32 v[vgprValuC+48], acc40 // copy acc to vreg[40]
v_accvgpr_read_b32 v[vgprValuC+49], acc41 // copy acc to vreg[41]
v_accvgpr_read_b32 v[vgprValuC+50], acc42 // copy acc to vreg[42]
v_accvgpr_read_b32 v[vgprValuC+51], acc43 // copy acc to vreg[43]
v_accvgpr_read_b32 v[vgprValuC+52], acc44 // copy acc to vreg[44]
v_accvgpr_read_b32 v[vgprValuC+53], acc45 // copy acc to vreg[45]
v_accvgpr_read_b32 v[vgprValuC+54], acc46 // copy acc to vreg[46]
v_accvgpr_read_b32 v[vgprValuC+55], acc47 // copy acc to vreg[47]
v_accvgpr_read_b32 v[vgprValuC+56], acc48 // copy acc to vreg[48]
v_accvgpr_read_b32 v[vgprValuC+57], acc49 // copy acc to vreg[49]
v_accvgpr_read_b32 v[vgprValuC+58], acc50 // copy acc to vreg[50]
v_accvgpr_read_b32 v[vgprValuC+59], acc51 // copy acc to vreg[51]
v_accvgpr_read_b32 v[vgprValuC+60], acc52 // copy acc to vreg[52]
v_accvgpr_read_b32 v[vgprValuC+61], acc53 // copy acc to vreg[53]
v_accvgpr_read_b32 v[vgprValuC+62], acc54 // copy acc to vreg[54]
v_accvgpr_read_b32 v[vgprValuC+63], acc55 // copy acc to vreg[55]
v_accvgpr_read_b32 v[vgprValuC+64], acc56 // copy acc to vreg[56]
v_accvgpr_read_b32 v[vgprValuC+65], acc57 // copy acc to vreg[57]
v_accvgpr_read_b32 v[vgprValuC+66], acc58 // copy acc to vreg[58]
v_accvgpr_read_b32 v[vgprValuC+67], acc59 // copy acc to vreg[59]
v_accvgpr_read_b32 v[vgprValuC+68], acc60 // copy acc to vreg[60]
v_accvgpr_read_b32 v[vgprValuC+69], acc61 // copy acc to vreg[61]
v_accvgpr_read_b32 v[vgprValuC+70], acc62 // copy acc to vreg[62]
v_accvgpr_read_b32 v[vgprValuC+71], acc63 // copy acc to vreg[63]
v_accvgpr_read_b32 v[vgprValuC+72], acc64 // copy acc to vreg[64]
v_accvgpr_read_b32 v[vgprValuC+73], acc65 // copy acc to vreg[65]
v_accvgpr_read_b32 v[vgprValuC+74], acc66 // copy acc to vreg[66]
v_accvgpr_read_b32 v[vgprValuC+75], acc67 // copy acc to vreg[67]
v_accvgpr_read_b32 v[vgprValuC+76], acc68 // copy acc to vreg[68]
v_accvgpr_read_b32 v[vgprValuC+77], acc69 // copy acc to vreg[69]
v_accvgpr_read_b32 v[vgprValuC+78], acc70 // copy acc to vreg[70]
v_accvgpr_read_b32 v[vgprValuC+79], acc71 // copy acc to vreg[71]
v_accvgpr_read_b32 v[vgprValuC+80], acc72 // copy acc to vreg[72]
v_accvgpr_read_b32 v[vgprValuC+81], acc73 // copy acc to vreg[73]
v_accvgpr_read_b32 v[vgprValuC+82], acc74 // copy acc to vreg[74]
v_accvgpr_read_b32 v[vgprValuC+83], acc75 // copy acc to vreg[75]
v_accvgpr_read_b32 v[vgprValuC+84], acc76 // copy acc to vreg[76]
v_accvgpr_read_b32 v[vgprValuC+85], acc77 // copy acc to vreg[77]
v_accvgpr_read_b32 v[vgprValuC+86], acc78 // copy acc to vreg[78]
v_accvgpr_read_b32 v[vgprValuC+87], acc79 // copy acc to vreg[79]
v_accvgpr_read_b32 v[vgprValuC+88], acc80 // copy acc to vreg[80]
v_accvgpr_read_b32 v[vgprValuC+89], acc81 // copy acc to vreg[81]
v_accvgpr_read_b32 v[vgprValuC+90], acc82 // copy acc to vreg[82]
v_accvgpr_read_b32 v[vgprValuC+91], acc83 // copy acc to vreg[83]
v_accvgpr_read_b32 v[vgprValuC+92], acc84 // copy acc to vreg[84]
v_accvgpr_read_b32 v[vgprValuC+93], acc85 // copy acc to vreg[85]
v_accvgpr_read_b32 v[vgprValuC+94], acc86 // copy acc to vreg[86]
v_accvgpr_read_b32 v[vgprValuC+95], acc87 // copy acc to vreg[87]
v_accvgpr_read_b32 v[vgprValuC+96], acc88 // copy acc to vreg[88]
v_accvgpr_read_b32 v[vgprValuC+97], acc89 // copy acc to vreg[89]
v_accvgpr_read_b32 v[vgprValuC+98], acc90 // copy acc to vreg[90]
v_accvgpr_read_b32 v[vgprValuC+99], acc91 // copy acc to vreg[91]
v_accvgpr_read_b32 v[vgprValuC+100], acc92 // copy acc to vreg[92]
v_accvgpr_read_b32 v[vgprValuC+101], acc93 // copy acc to vreg[93]
v_accvgpr_read_b32 v[vgprValuC+102], acc94 // copy acc to vreg[94]
v_accvgpr_read_b32 v[vgprValuC+103], acc95 // copy acc to vreg[95]
v_accvgpr_read_b32 v[vgprValuC+104], acc96 // copy acc to vreg[96]
v_accvgpr_read_b32 v[vgprValuC+105], acc97 // copy acc to vreg[97]
v_accvgpr_read_b32 v[vgprValuC+106], acc98 // copy acc to vreg[98]
v_accvgpr_read_b32 v[vgprValuC+107], acc99 // copy acc to vreg[99]
v_accvgpr_read_b32 v[vgprValuC+108], acc100 // copy acc to vreg[100]
v_accvgpr_read_b32 v[vgprValuC+109], acc101 // copy acc to vreg[101]
v_accvgpr_read_b32 v[vgprValuC+110], acc102 // copy acc to vreg[102]
v_accvgpr_read_b32 v[vgprValuC+111], acc103 // copy acc to vreg[103]
v_accvgpr_read_b32 v[vgprValuC+112], acc104 // copy acc to vreg[104]
v_accvgpr_read_b32 v[vgprValuC+113], acc105 // copy acc to vreg[105]
v_accvgpr_read_b32 v[vgprValuC+114], acc106 // copy acc to vreg[106]
v_accvgpr_read_b32 v[vgprValuC+115], acc107 // copy acc to vreg[107]
v_accvgpr_read_b32 v[vgprValuC+116], acc108 // copy acc to vreg[108]
v_accvgpr_read_b32 v[vgprValuC+117], acc109 // copy acc to vreg[109]
v_accvgpr_read_b32 v[vgprValuC+118], acc110 // copy acc to vreg[110]
v_accvgpr_read_b32 v[vgprValuC+119], acc111 // copy acc to vreg[111]
v_accvgpr_read_b32 v[vgprValuC+120], acc112 // copy acc to vreg[112]
v_accvgpr_read_b32 v[vgprValuC+121], acc113 // copy acc to vreg[113]
v_accvgpr_read_b32 v[vgprValuC+122], acc114 // copy acc to vreg[114]
v_accvgpr_read_b32 v[vgprValuC+123], acc115 // copy acc to vreg[115]
v_accvgpr_read_b32 v[vgprValuC+124], acc116 // copy acc to vreg[116]
v_accvgpr_read_b32 v[vgprValuC+125], acc117 // copy acc to vreg[117]
v_accvgpr_read_b32 v[vgprValuC+126], acc118 // copy acc to vreg[118]
v_accvgpr_read_b32 v[vgprValuC+127], acc119 // copy acc to vreg[119]
v_accvgpr_read_b32 v[vgprValuC+128], acc120 // copy acc to vreg[120]
v_accvgpr_read_b32 v[vgprValuC+129], acc121 // copy acc to vreg[121]
v_accvgpr_read_b32 v[vgprValuC+130], acc122 // copy acc to vreg[122]
v_accvgpr_read_b32 v[vgprValuC+131], acc123 // copy acc to vreg[123]
v_accvgpr_read_b32 v[vgprValuC+132], acc124 // copy acc to vreg[124]
v_accvgpr_read_b32 v[vgprValuC+133], acc125 // copy acc to vreg[125]
v_accvgpr_read_b32 v[vgprValuC+134], acc126 // copy acc to vreg[126]
v_accvgpr_read_b32 v[vgprValuC+135], acc127 // copy acc to vreg[127]
v_accvgpr_read_b32 v[vgprValuC+136], acc128 // copy acc to vreg[128]
v_accvgpr_read_b32 v[vgprValuC+137], acc129 // copy acc to vreg[129]
v_accvgpr_read_b32 v[vgprValuC+138], acc130 // copy acc to vreg[130]
v_accvgpr_read_b32 v[vgprValuC+139], acc131 // copy acc to vreg[131]
v_accvgpr_read_b32 v[vgprValuC+140], acc132 // copy acc to vreg[132]
v_accvgpr_read_b32 v[vgprValuC+141], acc133 // copy acc to vreg[133]
v_accvgpr_read_b32 v[vgprValuC+142], acc134 // copy acc to vreg[134]
v_accvgpr_read_b32 v[vgprValuC+143], acc135 // copy acc to vreg[135]
v_accvgpr_read_b32 v[vgprValuC+144], acc136 // copy acc to vreg[136]
v_accvgpr_read_b32 v[vgprValuC+145], acc137 // copy acc to vreg[137]
v_accvgpr_read_b32 v[vgprValuC+146], acc138 // copy acc to vreg[138]
v_accvgpr_read_b32 v[vgprValuC+147], acc139 // copy acc to vreg[139]
v_accvgpr_read_b32 v[vgprValuC+148], acc140 // copy acc to vreg[140]
v_accvgpr_read_b32 v[vgprValuC+149], acc141 // copy acc to vreg[141]
v_accvgpr_read_b32 v[vgprValuC+150], acc142 // copy acc to vreg[142]
v_accvgpr_read_b32 v[vgprValuC+151], acc143 // copy acc to vreg[143]
s_nop 1                                            // 2 wait states required before reading vgpr

/* rC *= alpha batchElements=[(0, 0, 0, 0), (0, 1, 0, 0), (0, 2, 0, 0), (0, 3, 0, 0), (0, 4, 0, 0), (0, 5, 0, 0), (0, 6, 0, 0), (0, 7, 0, 0), (0, 8, 0, 0), (0, 0, 1, 0), (0, 1, 1, 0), (0, 2, 1, 0), (0, 3, 1, 0), (0, 4, 1, 0), (0, 5, 1, 0), (0, 6, 1, 0), (0, 7, 1, 0), (0, 8, 1, 0), (1, 0, 0, 0), (1, 1, 0, 0), (1, 2, 0, 0), (1, 3, 0, 0), (1, 4, 0, 0), (1, 5, 0, 0), (1, 6, 0, 0), (1, 7, 0, 0), (1, 8, 0, 0), (1, 0, 1, 0), (1, 1, 1, 0), (1, 2, 1, 0), (1, 3, 1, 0), (1, 4, 1, 0), (1, 5, 1, 0), (1, 6, 1, 0), (1, 7, 1, 0), (1, 8, 1, 0)] */
v_mul_f32 v[vgprValuC+8], s[sgprAlpha], v[vgprValuC+8] // *= alpha
v_mul_f32 v[vgprValuC+9], s[sgprAlpha], v[vgprValuC+9] // *= alpha
	;; [unrolled: 1-line block ×144, first 2 shown]

/* apply mask, calc new C and issue writes */
v_cvt_f16_f32 v[vgprValuC+8], v[vgprValuC+8]       // convert C to fp16
v_cvt_f16_f32 v[vgprValuC+9], v[vgprValuC+9]       // convert C to fp16
v_pack_b32_f16 v8, v[vgprValuC+8], v[vgprValuC+9]  // Pack with neighbor
v_cvt_f16_f32 v[vgprValuC+10], v[vgprValuC+10]     // convert C to fp16
v_cvt_f16_f32 v[vgprValuC+11], v[vgprValuC+11]     // convert C to fp16
v_pack_b32_f16 v9, v[vgprValuC+10], v[vgprValuC+11] // Pack with neighbor
_buffer_store_b64 v[8:9], v6, s[sgprSrdD:sgprSrdD+3], 0, offen, offset:0 // store D
v_cvt_f16_f32 v[vgprValuC+12], v[vgprValuC+12]     // convert C to fp16
v_cvt_f16_f32 v[vgprValuC+13], v[vgprValuC+13]     // convert C to fp16
v_pack_b32_f16 v12, v[vgprValuC+12], v[vgprValuC+13] // Pack with neighbor
v_cvt_f16_f32 v[vgprValuC+14], v[vgprValuC+14]     // convert C to fp16
v_cvt_f16_f32 v[vgprValuC+15], v[vgprValuC+15]     // convert C to fp16
v_pack_b32_f16 v13, v[vgprValuC+14], v[vgprValuC+15] // Pack with neighbor
_buffer_store_b64 v[12:13], v6, s[sgprSrdD:sgprSrdD+3], 0, offen, offset:32 // store D
v_cvt_f16_f32 v[vgprValuC+16], v[vgprValuC+16]     // convert C to fp16
v_cvt_f16_f32 v[vgprValuC+17], v[vgprValuC+17]     // convert C to fp16
v_pack_b32_f16 v16, v[vgprValuC+16], v[vgprValuC+17] // Pack with neighbor
	;; [unrolled: 7-line block ×9, first 2 shown]
v_cvt_f16_f32 v[vgprValuC+46], v[vgprValuC+46]     // convert C to fp16
v_cvt_f16_f32 v[vgprValuC+47], v[vgprValuC+47]     // convert C to fp16
v_pack_b32_f16 v45, v[vgprValuC+46], v[vgprValuC+47] // Pack with neighbor
s_lshl_b32  s54, s[sgprStrideD1J], 1               // incToNextRow: Scale by BPE
s_add_u32  s[sgprSrdD+0], s[sgprSrdD+0], s54       // incToNextRow: gra SRD += inc(lower)
s_addc_u32  s[sgprSrdD+1], s[sgprSrdD+1], 0        // incToNextRow: gra SRD += inc(upper)
_buffer_store_b64 v[44:45], v6, s[sgprSrdD:sgprSrdD+3], 0, offen, offset:0 // store D
v_cvt_f16_f32 v[vgprValuC+48], v[vgprValuC+48]     // convert C to fp16
v_cvt_f16_f32 v[vgprValuC+49], v[vgprValuC+49]     // convert C to fp16
v_pack_b32_f16 v48, v[vgprValuC+48], v[vgprValuC+49] // Pack with neighbor
v_cvt_f16_f32 v[vgprValuC+50], v[vgprValuC+50]     // convert C to fp16
v_cvt_f16_f32 v[vgprValuC+51], v[vgprValuC+51]     // convert C to fp16
v_pack_b32_f16 v49, v[vgprValuC+50], v[vgprValuC+51] // Pack with neighbor
_buffer_store_b64 v[48:49], v6, s[sgprSrdD:sgprSrdD+3], 0, offen, offset:32 // store D
v_cvt_f16_f32 v[vgprValuC+52], v[vgprValuC+52]     // convert C to fp16
v_cvt_f16_f32 v[vgprValuC+53], v[vgprValuC+53]     // convert C to fp16
v_pack_b32_f16 v52, v[vgprValuC+52], v[vgprValuC+53] // Pack with neighbor
v_cvt_f16_f32 v[vgprValuC+54], v[vgprValuC+54]     // convert C to fp16
v_cvt_f16_f32 v[vgprValuC+55], v[vgprValuC+55]     // convert C to fp16
v_pack_b32_f16 v53, v[vgprValuC+54], v[vgprValuC+55] // Pack with neighbor
	;; [unrolled: 7-line block ×9, first 2 shown]
s_mul_i32 s54, s[sgprStrideD1J], 254               // scale StrideD *= numRows(127) * bpe
s_add_u32  s[sgprSrdD+0], s[sgprSrdD+0], s54       // incToNextRow: gra SRD += inc(lower)
s_addc_u32  s[sgprSrdD+1], s[sgprSrdD+1], 0        // incToNextRow: gra SRD += inc(upper)
_buffer_store_b64 v[80:81], v6, s[sgprSrdD:sgprSrdD+3], 0, offen, offset:0 // store D
v_cvt_f16_f32 v[vgprValuC+84], v[vgprValuC+84]     // convert C to fp16
v_cvt_f16_f32 v[vgprValuC+85], v[vgprValuC+85]     // convert C to fp16
v_pack_b32_f16 v84, v[vgprValuC+84], v[vgprValuC+85] // Pack with neighbor
v_cvt_f16_f32 v[vgprValuC+86], v[vgprValuC+86]     // convert C to fp16
v_cvt_f16_f32 v[vgprValuC+87], v[vgprValuC+87]     // convert C to fp16
v_pack_b32_f16 v85, v[vgprValuC+86], v[vgprValuC+87] // Pack with neighbor
_buffer_store_b64 v[84:85], v6, s[sgprSrdD:sgprSrdD+3], 0, offen, offset:32 // store D
v_cvt_f16_f32 v[vgprValuC+88], v[vgprValuC+88]     // convert C to fp16
v_cvt_f16_f32 v[vgprValuC+89], v[vgprValuC+89]     // convert C to fp16
v_pack_b32_f16 v88, v[vgprValuC+88], v[vgprValuC+89] // Pack with neighbor
v_cvt_f16_f32 v[vgprValuC+90], v[vgprValuC+90]     // convert C to fp16
v_cvt_f16_f32 v[vgprValuC+91], v[vgprValuC+91]     // convert C to fp16
v_pack_b32_f16 v89, v[vgprValuC+90], v[vgprValuC+91] // Pack with neighbor
	;; [unrolled: 7-line block ×4, first 2 shown]
_buffer_store_b64 v[96:97], v6, s[sgprSrdD:sgprSrdD+3], 0, offen, offset:128 // store D
v_cvt_f16_f32 v[vgprValuC+100], v[vgprValuC+100]   // convert C to fp16
v_cvt_f16_f32 v[vgprValuC+101], v[vgprValuC+101]   // convert C to fp16
v_pack_b32_f16 v100, v[vgprValuC+100], v[vgprValuC+101] // Pack with neighbor
v_cvt_f16_f32 v[vgprValuC+102], v[vgprValuC+102]   // convert C to fp16
v_cvt_f16_f32 v[vgprValuC+103], v[vgprValuC+103]   // convert C to fp16
v_pack_b32_f16 v101, v[vgprValuC+102], v[vgprValuC+103] // Pack with neighbor
_buffer_store_b64 v[100:101], v6, s[sgprSrdD:sgprSrdD+3], 0, offen, offset:160 // store D
v_cvt_f16_f32 v[vgprValuC+104], v[vgprValuC+104]   // convert C to fp16
v_cvt_f16_f32 v[vgprValuC+105], v[vgprValuC+105]   // convert C to fp16
v_pack_b32_f16 v104, v[vgprValuC+104], v[vgprValuC+105] // Pack with neighbor
v_cvt_f16_f32 v[vgprValuC+106], v[vgprValuC+106]   // convert C to fp16
v_cvt_f16_f32 v[vgprValuC+107], v[vgprValuC+107]   // convert C to fp16
v_pack_b32_f16 v105, v[vgprValuC+106], v[vgprValuC+107] // Pack with neighbor
	;; [unrolled: 7-line block ×5, first 2 shown]
s_lshl_b32  s54, s[sgprStrideD1J], 1               // incToNextRow: Scale by BPE
s_add_u32  s[sgprSrdD+0], s[sgprSrdD+0], s54       // incToNextRow: gra SRD += inc(lower)
s_addc_u32  s[sgprSrdD+1], s[sgprSrdD+1], 0        // incToNextRow: gra SRD += inc(upper)
_buffer_store_b64 v[116:117], v6, s[sgprSrdD:sgprSrdD+3], 0, offen, offset:0 // store D
v_cvt_f16_f32 v[vgprValuC+120], v[vgprValuC+120]   // convert C to fp16
v_cvt_f16_f32 v[vgprValuC+121], v[vgprValuC+121]   // convert C to fp16
v_pack_b32_f16 v120, v[vgprValuC+120], v[vgprValuC+121] // Pack with neighbor
v_cvt_f16_f32 v[vgprValuC+122], v[vgprValuC+122]   // convert C to fp16
v_cvt_f16_f32 v[vgprValuC+123], v[vgprValuC+123]   // convert C to fp16
v_pack_b32_f16 v121, v[vgprValuC+122], v[vgprValuC+123] // Pack with neighbor
_buffer_store_b64 v[120:121], v6, s[sgprSrdD:sgprSrdD+3], 0, offen, offset:32 // store D
v_cvt_f16_f32 v[vgprValuC+124], v[vgprValuC+124]   // convert C to fp16
v_cvt_f16_f32 v[vgprValuC+125], v[vgprValuC+125]   // convert C to fp16
v_pack_b32_f16 v124, v[vgprValuC+124], v[vgprValuC+125] // Pack with neighbor
v_cvt_f16_f32 v[vgprValuC+126], v[vgprValuC+126]   // convert C to fp16
v_cvt_f16_f32 v[vgprValuC+127], v[vgprValuC+127]   // convert C to fp16
v_pack_b32_f16 v125, v[vgprValuC+126], v[vgprValuC+127] // Pack with neighbor
	;; [unrolled: 7-line block ×8, first 2 shown]
_buffer_store_b64 v[148:149], v6, s[sgprSrdD:sgprSrdD+3], 0, offen, offset:256 // store D
s_nop 0                                            // 1 wait state required when next inst writes vgprs held by previous dwordx4 store inst
s_branch label_GW_End_42                           // jump to end
GW_B0_E1_34:

/* edge=1, allocate 6 sgpr. perBatchTmpS=4 perBatchMaskS=2 perElementMaskS=0 elementsPerBatch=46 */
/* optSingleColVgpr=0 optSharedColVgpr=0 optSGPRUsage=BufferLoad_Edge_Mask optSrdIncForRow=0 */

/******************************************/
/* Global Write Alpha Edge Batch #0 (d1,d0,vc1,vc0) = */
/*    (0,0,0,0:vw4); (0,1,0,0:vw4); (0,2,0,0:vw4); (0,3,0,0:vw4); (0,4,0,0:vw4); (0,5,0,0:vw4); (0,6,0,0:vw4); (0,7,0,0:vw4); (0,8,0,0:vw4); (0,0,1,0:vw4); (0,1,1,0:vw4); (0,2,1,0:vw4); (0,3,1,0:vw4); (0,4,1,0:vw4); (0,5,1,0:vw4); (0,6,1,0:vw4); (0,7,1,0:vw4); (0,8,1,0:vw4); (1,0,0,0:vw4); (1,1,0,0:vw4); (1,2,0,0:vw4); (1,3,0,0:vw4); (1,4,0,0:vw4); (1,5,0,0:vw4); (1,6,0,0:vw4); (1,7,0,0:vw4); (1,8,0,0:vw4); (1,0,1,0:vw4); (1,1,1,0:vw4); (1,2,1,0:vw4); (1,3,1,0:vw4); (1,4,1,0:vw4); (1,5,1,0:vw4); (1,6,1,0:vw4); (1,7,1,0:vw4); (1,8,1,0:vw4) */
/******************************************/

/* calc coords, apply mask, and issue loads (if necessary) */
/* (d1,vc1,d0,vc0)=(0,0,0,0) */
v_cmp_lt_u32 s[54:55], v0, s[sgprSizeI]            // coord0 < size0
v_cmp_lt_u32 s[58:59], v1, s[sgprSizeJ]            // coord1 < size1
s_and_b64 s[58:59], s[54:55], s[58:59]             // in0 && in1
_v_add_lshl_u32 v6, v3, v0, 0x1                    // scaleToBpe: accumulate d0 lower and *= bpe into Cin addr
v_cndmask_b32 v6, -1, v6, s[58:59]                 // LDD clip if OOB. offset
/* (d1,vc1,d0,vc0)=(0,0,1,0) */
_v_add_co_u32 v4, vcc, v0, 16                      // coord0.1: coord0 += d0*sg0*VW + vc0
v_cmp_lt_u32 s[54:55], v4, s[sgprSizeI]            // coord0 < size0
v_cmp_lt_u32 s[58:59], v1, s[sgprSizeJ]            // coord1 < size1
s_and_b64 s[58:59], s[54:55], s[58:59]             // in0 && in1
_v_add_lshl_u32 v7, v3, v4, 0x1                    // scaleToBpe: accumulate d0 lower and *= bpe into Cin addr
v_cndmask_b32 v7, -1, v7, s[58:59]                 // LDD clip if OOB. offset
/* (d1,vc1,d0,vc0)=(0,0,2,0) */
_v_add_co_u32 v4, vcc, v0, 32                      // coord0.1: coord0 += d0*sg0*VW + vc0
v_cmp_lt_u32 s[54:55], v4, s[sgprSizeI]            // coord0 < size0
v_cmp_lt_u32 s[58:59], v1, s[sgprSizeJ]            // coord1 < size1
s_and_b64 s[58:59], s[54:55], s[58:59]             // in0 && in1
_v_add_lshl_u32 v16, v3, v4, 0x1                   // scaleToBpe: accumulate d0 lower and *= bpe into Cin addr
v_cndmask_b32 v16, -1, v16, s[58:59]               // LDD clip if OOB. offset
/* (d1,vc1,d0,vc0)=(0,0,3,0) */
_v_add_co_u32 v4, vcc, v0, 48                      // coord0.1: coord0 += d0*sg0*VW + vc0
v_cmp_lt_u32 s[54:55], v4, s[sgprSizeI]            // coord0 < size0
v_cmp_lt_u32 s[58:59], v1, s[sgprSizeJ]            // coord1 < size1
s_and_b64 s[58:59], s[54:55], s[58:59]             // in0 && in1
_v_add_lshl_u32 v17, v3, v4, 0x1                   // scaleToBpe: accumulate d0 lower and *= bpe into Cin addr
v_cndmask_b32 v17, -1, v17, s[58:59]               // LDD clip if OOB. offset
	;; [unrolled: 7-line block ×3, first 2 shown]
/* (d1,vc1,d0,vc0)=(0,0,5,0) */
s_mov_b32 s54, 80                                  // coordOffset0 d0=5 vc0=0
_v_add_co_u32 v4, vcc, v0, s54                     // coord0.2: coord0 += d0*sg0*VW + vc0
v_cmp_lt_u32 s[54:55], v4, s[sgprSizeI]            // coord0 < size0
v_cmp_lt_u32 s[58:59], v1, s[sgprSizeJ]            // coord1 < size1
s_and_b64 s[58:59], s[54:55], s[58:59]             // in0 && in1
_v_add_lshl_u32 v19, v3, v4, 0x1                   // scaleToBpe: accumulate d0 lower and *= bpe into Cin addr
v_cndmask_b32 v19, -1, v19, s[58:59]               // LDD clip if OOB. offset
/* (d1,vc1,d0,vc0)=(0,0,6,0) */
s_mov_b32 s54, 96                                  // coordOffset0 d0=6 vc0=0
_v_add_co_u32 v4, vcc, v0, s54                     // coord0.2: coord0 += d0*sg0*VW + vc0
v_cmp_lt_u32 s[54:55], v4, s[sgprSizeI]            // coord0 < size0
v_cmp_lt_u32 s[58:59], v1, s[sgprSizeJ]            // coord1 < size1
s_and_b64 s[58:59], s[54:55], s[58:59]             // in0 && in1
_v_add_lshl_u32 v36, v3, v4, 0x1                   // scaleToBpe: accumulate d0 lower and *= bpe into Cin addr
v_cndmask_b32 v36, -1, v36, s[58:59]               // LDD clip if OOB. offset
/* (d1,vc1,d0,vc0)=(0,0,7,0) */
s_mov_b32 s54, 112                                 // coordOffset0 d0=7 vc0=0
_v_add_co_u32 v4, vcc, v0, s54                     // coord0.2: coord0 += d0*sg0*VW + vc0
v_cmp_lt_u32 s[54:55], v4, s[sgprSizeI]            // coord0 < size0
v_cmp_lt_u32 s[58:59], v1, s[sgprSizeJ]            // coord1 < size1
s_and_b64 s[58:59], s[54:55], s[58:59]             // in0 && in1
_v_add_lshl_u32 v37, v3, v4, 0x1                   // scaleToBpe: accumulate d0 lower and *= bpe into Cin addr
v_cndmask_b32 v37, -1, v37, s[58:59]               // LDD clip if OOB. offset
/* (d1,vc1,d0,vc0)=(0,0,8,0) */
s_mov_b32 s54, 128                                 // coordOffset0 d0=8 vc0=0
_v_add_co_u32 v4, vcc, v0, s54                     // coord0.2: coord0 += d0*sg0*VW + vc0
v_cmp_lt_u32 s[54:55], v4, s[sgprSizeI]            // coord0 < size0
v_cmp_lt_u32 s[58:59], v1, s[sgprSizeJ]            // coord1 < size1
s_and_b64 s[58:59], s[54:55], s[58:59]             // in0 && in1
_v_add_lshl_u32 v38, v3, v4, 0x1                   // scaleToBpe: accumulate d0 lower and *= bpe into Cin addr
v_cndmask_b32 v38, -1, v38, s[58:59]               // LDD clip if OOB. offset
/* (d1,vc1,d0,vc0)=(0,1,0,0) */
_v_add_co_u32 v1, vcc, v1, 1                       // coord1.1: coord1Vgpr += d1*sg1*VW + vc1

/* Fix for UseInitialStridesCD, emitAddressSetupCode */
_v_add_u32 v2, v2, s[sgprStrideC1J]                // ROWINC- Move cinRowPtr to next row
_v_add_u32 v3, v3, s[sgprStrideD1J]                // Move coutRowPtr to next row
v_cmp_lt_u32 s[54:55], v0, s[sgprSizeI]            // coord0 < size0
v_cmp_lt_u32 s[58:59], v1, s[sgprSizeJ]            // coord1 < size1
s_and_b64 s[58:59], s[54:55], s[58:59]             // in0 && in1
_v_add_lshl_u32 v39, v3, v0, 0x1                   // scaleToBpe: accumulate d0 lower and *= bpe into Cin addr
v_cndmask_b32 v39, -1, v39, s[58:59]               // LDD clip if OOB. offset
/* (d1,vc1,d0,vc0)=(0,1,1,0) */
_v_add_co_u32 v4, vcc, v0, 16                      // coord0.1: coord0 += d0*sg0*VW + vc0
v_cmp_lt_u32 s[54:55], v4, s[sgprSizeI]            // coord0 < size0
v_cmp_lt_u32 s[58:59], v1, s[sgprSizeJ]            // coord1 < size1
s_and_b64 s[58:59], s[54:55], s[58:59]             // in0 && in1
_v_add_lshl_u32 v56, v3, v4, 0x1                   // scaleToBpe: accumulate d0 lower and *= bpe into Cin addr
v_cndmask_b32 v56, -1, v56, s[58:59]               // LDD clip if OOB. offset
/* (d1,vc1,d0,vc0)=(0,1,2,0) */
_v_add_co_u32 v4, vcc, v0, 32                      // coord0.1: coord0 += d0*sg0*VW + vc0
	;; [unrolled: 7-line block ×4, first 2 shown]
v_cmp_lt_u32 s[54:55], v4, s[sgprSizeI]            // coord0 < size0
v_cmp_lt_u32 s[58:59], v1, s[sgprSizeJ]            // coord1 < size1
s_and_b64 s[58:59], s[54:55], s[58:59]             // in0 && in1
_v_add_lshl_u32 v59, v3, v4, 0x1                   // scaleToBpe: accumulate d0 lower and *= bpe into Cin addr
v_cndmask_b32 v59, -1, v59, s[58:59]               // LDD clip if OOB. offset
/* (d1,vc1,d0,vc0)=(0,1,5,0) */
s_mov_b32 s54, 80                                  // coordOffset0 d0=5 vc0=0
_v_add_co_u32 v4, vcc, v0, s54                     // coord0.2: coord0 += d0*sg0*VW + vc0
v_cmp_lt_u32 s[54:55], v4, s[sgprSizeI]            // coord0 < size0
v_cmp_lt_u32 s[58:59], v1, s[sgprSizeJ]            // coord1 < size1
s_and_b64 s[58:59], s[54:55], s[58:59]             // in0 && in1
_v_add_lshl_u32 v76, v3, v4, 0x1                   // scaleToBpe: accumulate d0 lower and *= bpe into Cin addr
v_cndmask_b32 v76, -1, v76, s[58:59]               // LDD clip if OOB. offset
/* (d1,vc1,d0,vc0)=(0,1,6,0) */
s_mov_b32 s54, 96                                  // coordOffset0 d0=6 vc0=0
_v_add_co_u32 v4, vcc, v0, s54                     // coord0.2: coord0 += d0*sg0*VW + vc0
v_cmp_lt_u32 s[54:55], v4, s[sgprSizeI]            // coord0 < size0
v_cmp_lt_u32 s[58:59], v1, s[sgprSizeJ]            // coord1 < size1
s_and_b64 s[58:59], s[54:55], s[58:59]             // in0 && in1
_v_add_lshl_u32 v77, v3, v4, 0x1                   // scaleToBpe: accumulate d0 lower and *= bpe into Cin addr
v_cndmask_b32 v77, -1, v77, s[58:59]               // LDD clip if OOB. offset
/* (d1,vc1,d0,vc0)=(0,1,7,0) */
s_mov_b32 s54, 112                                 // coordOffset0 d0=7 vc0=0
_v_add_co_u32 v4, vcc, v0, s54                     // coord0.2: coord0 += d0*sg0*VW + vc0
v_cmp_lt_u32 s[54:55], v4, s[sgprSizeI]            // coord0 < size0
v_cmp_lt_u32 s[58:59], v1, s[sgprSizeJ]            // coord1 < size1
s_and_b64 s[58:59], s[54:55], s[58:59]             // in0 && in1
_v_add_lshl_u32 v78, v3, v4, 0x1                   // scaleToBpe: accumulate d0 lower and *= bpe into Cin addr
v_cndmask_b32 v78, -1, v78, s[58:59]               // LDD clip if OOB. offset
/* (d1,vc1,d0,vc0)=(0,1,8,0) */
s_mov_b32 s54, 128                                 // coordOffset0 d0=8 vc0=0
_v_add_co_u32 v4, vcc, v0, s54                     // coord0.2: coord0 += d0*sg0*VW + vc0
v_cmp_lt_u32 s[54:55], v4, s[sgprSizeI]            // coord0 < size0
v_cmp_lt_u32 s[58:59], v1, s[sgprSizeJ]            // coord1 < size1
s_and_b64 s[58:59], s[54:55], s[58:59]             // in0 && in1
_v_add_lshl_u32 v79, v3, v4, 0x1                   // scaleToBpe: accumulate d0 lower and *= bpe into Cin addr
v_cndmask_b32 v79, -1, v79, s[58:59]               // LDD clip if OOB. offset
/* (d1,vc1,d0,vc0)=(1,0,0,0) */
s_mov_b32 s54, 127                                 // rowInc d1=0 vc1=0
_v_add_co_u32 v1, vcc, v1, s54                     // coord1.2: coord1 += d1*sg1*VW + vc1

/* Fix for UseInitialStridesCD, emitAddressSetupCode */
s_mul_i32 s54, s[sgprStrideC1J], 127               // scale stride
_v_add_u32 v2, v2, s54                             // ROWINC- Move cinRowPtr to next row
s_mul_i32 s54, s[sgprStrideD1J], 127               // scale stride
_v_add_u32 v3, v3, s54                             // Move coutRowPtr to next row
v_cmp_lt_u32 s[54:55], v0, s[sgprSizeI]            // coord0 < size0
v_cmp_lt_u32 s[58:59], v1, s[sgprSizeJ]            // coord1 < size1
s_and_b64 s[58:59], s[54:55], s[58:59]             // in0 && in1
_v_add_lshl_u32 v96, v3, v0, 0x1                   // scaleToBpe: accumulate d0 lower and *= bpe into Cin addr
v_cndmask_b32 v96, -1, v96, s[58:59]               // LDD clip if OOB. offset
/* (d1,vc1,d0,vc0)=(1,0,1,0) */
_v_add_co_u32 v4, vcc, v0, 16                      // coord0.1: coord0 += d0*sg0*VW + vc0
v_cmp_lt_u32 s[54:55], v4, s[sgprSizeI]            // coord0 < size0
v_cmp_lt_u32 s[58:59], v1, s[sgprSizeJ]            // coord1 < size1
s_and_b64 s[58:59], s[54:55], s[58:59]             // in0 && in1
_v_add_lshl_u32 v97, v3, v4, 0x1                   // scaleToBpe: accumulate d0 lower and *= bpe into Cin addr
v_cndmask_b32 v97, -1, v97, s[58:59]               // LDD clip if OOB. offset
/* (d1,vc1,d0,vc0)=(1,0,2,0) */
_v_add_co_u32 v4, vcc, v0, 32                      // coord0.1: coord0 += d0*sg0*VW + vc0
	;; [unrolled: 7-line block ×4, first 2 shown]
v_cmp_lt_u32 s[54:55], v4, s[sgprSizeI]            // coord0 < size0
v_cmp_lt_u32 s[58:59], v1, s[sgprSizeJ]            // coord1 < size1
s_and_b64 s[58:59], s[54:55], s[58:59]             // in0 && in1
_v_add_lshl_u32 v116, v3, v4, 0x1                  // scaleToBpe: accumulate d0 lower and *= bpe into Cin addr
v_cndmask_b32 v116, -1, v116, s[58:59]             // LDD clip if OOB. offset
/* (d1,vc1,d0,vc0)=(1,0,5,0) */
s_mov_b32 s54, 80                                  // coordOffset0 d0=5 vc0=0
_v_add_co_u32 v4, vcc, v0, s54                     // coord0.2: coord0 += d0*sg0*VW + vc0
v_cmp_lt_u32 s[54:55], v4, s[sgprSizeI]            // coord0 < size0
v_cmp_lt_u32 s[58:59], v1, s[sgprSizeJ]            // coord1 < size1
s_and_b64 s[58:59], s[54:55], s[58:59]             // in0 && in1
_v_add_lshl_u32 v117, v3, v4, 0x1                  // scaleToBpe: accumulate d0 lower and *= bpe into Cin addr
v_cndmask_b32 v117, -1, v117, s[58:59]             // LDD clip if OOB. offset
/* (d1,vc1,d0,vc0)=(1,0,6,0) */
s_mov_b32 s54, 96                                  // coordOffset0 d0=6 vc0=0
_v_add_co_u32 v4, vcc, v0, s54                     // coord0.2: coord0 += d0*sg0*VW + vc0
v_cmp_lt_u32 s[54:55], v4, s[sgprSizeI]            // coord0 < size0
v_cmp_lt_u32 s[58:59], v1, s[sgprSizeJ]            // coord1 < size1
s_and_b64 s[58:59], s[54:55], s[58:59]             // in0 && in1
_v_add_lshl_u32 v118, v3, v4, 0x1                  // scaleToBpe: accumulate d0 lower and *= bpe into Cin addr
v_cndmask_b32 v118, -1, v118, s[58:59]             // LDD clip if OOB. offset
/* (d1,vc1,d0,vc0)=(1,0,7,0) */
s_mov_b32 s54, 112                                 // coordOffset0 d0=7 vc0=0
_v_add_co_u32 v4, vcc, v0, s54                     // coord0.2: coord0 += d0*sg0*VW + vc0
v_cmp_lt_u32 s[54:55], v4, s[sgprSizeI]            // coord0 < size0
v_cmp_lt_u32 s[58:59], v1, s[sgprSizeJ]            // coord1 < size1
s_and_b64 s[58:59], s[54:55], s[58:59]             // in0 && in1
_v_add_lshl_u32 v119, v3, v4, 0x1                  // scaleToBpe: accumulate d0 lower and *= bpe into Cin addr
v_cndmask_b32 v119, -1, v119, s[58:59]             // LDD clip if OOB. offset
/* (d1,vc1,d0,vc0)=(1,0,8,0) */
s_mov_b32 s54, 128                                 // coordOffset0 d0=8 vc0=0
_v_add_co_u32 v4, vcc, v0, s54                     // coord0.2: coord0 += d0*sg0*VW + vc0
v_cmp_lt_u32 s[54:55], v4, s[sgprSizeI]            // coord0 < size0
v_cmp_lt_u32 s[58:59], v1, s[sgprSizeJ]            // coord1 < size1
s_and_b64 s[58:59], s[54:55], s[58:59]             // in0 && in1
_v_add_lshl_u32 v136, v3, v4, 0x1                  // scaleToBpe: accumulate d0 lower and *= bpe into Cin addr
v_cndmask_b32 v136, -1, v136, s[58:59]             // LDD clip if OOB. offset
/* (d1,vc1,d0,vc0)=(1,1,0,0) */
_v_add_co_u32 v1, vcc, v1, 1                       // coord1.1: coord1Vgpr += d1*sg1*VW + vc1

/* Fix for UseInitialStridesCD, emitAddressSetupCode */
_v_add_u32 v2, v2, s[sgprStrideC1J]                // ROWINC- Move cinRowPtr to next row
_v_add_u32 v3, v3, s[sgprStrideD1J]                // Move coutRowPtr to next row
v_cmp_lt_u32 s[54:55], v0, s[sgprSizeI]            // coord0 < size0
v_cmp_lt_u32 s[58:59], v1, s[sgprSizeJ]            // coord1 < size1
s_and_b64 s[58:59], s[54:55], s[58:59]             // in0 && in1
_v_add_lshl_u32 v137, v3, v0, 0x1                  // scaleToBpe: accumulate d0 lower and *= bpe into Cin addr
v_cndmask_b32 v137, -1, v137, s[58:59]             // LDD clip if OOB. offset
/* (d1,vc1,d0,vc0)=(1,1,1,0) */
_v_add_co_u32 v4, vcc, v0, 16                      // coord0.1: coord0 += d0*sg0*VW + vc0
v_cmp_lt_u32 s[54:55], v4, s[sgprSizeI]            // coord0 < size0
v_cmp_lt_u32 s[58:59], v1, s[sgprSizeJ]            // coord1 < size1
s_and_b64 s[58:59], s[54:55], s[58:59]             // in0 && in1
_v_add_lshl_u32 v138, v3, v4, 0x1                  // scaleToBpe: accumulate d0 lower and *= bpe into Cin addr
v_cndmask_b32 v138, -1, v138, s[58:59]             // LDD clip if OOB. offset
/* (d1,vc1,d0,vc0)=(1,1,2,0) */
_v_add_co_u32 v4, vcc, v0, 32                      // coord0.1: coord0 += d0*sg0*VW + vc0
v_cmp_lt_u32 s[54:55], v4, s[sgprSizeI]            // coord0 < size0
v_cmp_lt_u32 s[58:59], v1, s[sgprSizeJ]            // coord1 < size1
s_and_b64 s[58:59], s[54:55], s[58:59]             // in0 && in1
_v_add_lshl_u32 v139, v3, v4, 0x1                  // scaleToBpe: accumulate d0 lower and *= bpe into Cin addr
v_cndmask_b32 v139, -1, v139, s[58:59]             // LDD clip if OOB. offset
/* (d1,vc1,d0,vc0)=(1,1,3,0) */
_v_add_co_u32 v4, vcc, v0, 48                      // coord0.1: coord0 += d0*sg0*VW + vc0
v_cmp_lt_u32 s[54:55], v4, s[sgprSizeI]            // coord0 < size0
v_cmp_lt_u32 s[58:59], v1, s[sgprSizeJ]            // coord1 < size1
s_and_b64 s[58:59], s[54:55], s[58:59]             // in0 && in1
_v_add_lshl_u32 v156, v3, v4, 0x1                  // scaleToBpe: accumulate d0 lower and *= bpe into Cin addr
v_cndmask_b32 v156, -1, v156, s[58:59]             // LDD clip if OOB. offset
/* (d1,vc1,d0,vc0)=(1,1,4,0) */
_v_add_co_u32 v4, vcc, v0, 64                      // coord0.1: coord0 += d0*sg0*VW + vc0
v_cmp_lt_u32 s[54:55], v4, s[sgprSizeI]            // coord0 < size0
v_cmp_lt_u32 s[58:59], v1, s[sgprSizeJ]            // coord1 < size1
s_and_b64 s[58:59], s[54:55], s[58:59]             // in0 && in1
_v_add_lshl_u32 v157, v3, v4, 0x1                  // scaleToBpe: accumulate d0 lower and *= bpe into Cin addr
v_cndmask_b32 v157, -1, v157, s[58:59]             // LDD clip if OOB. offset
/* (d1,vc1,d0,vc0)=(1,1,5,0) */
s_mov_b32 s54, 80                                  // coordOffset0 d0=5 vc0=0
_v_add_co_u32 v4, vcc, v0, s54                     // coord0.2: coord0 += d0*sg0*VW + vc0
v_cmp_lt_u32 s[54:55], v4, s[sgprSizeI]            // coord0 < size0
v_cmp_lt_u32 s[58:59], v1, s[sgprSizeJ]            // coord1 < size1
s_and_b64 s[58:59], s[54:55], s[58:59]             // in0 && in1
_v_add_lshl_u32 v158, v3, v4, 0x1                  // scaleToBpe: accumulate d0 lower and *= bpe into Cin addr
v_cndmask_b32 v158, -1, v158, s[58:59]             // LDD clip if OOB. offset
/* (d1,vc1,d0,vc0)=(1,1,6,0) */
s_mov_b32 s54, 96                                  // coordOffset0 d0=6 vc0=0
_v_add_co_u32 v4, vcc, v0, s54                     // coord0.2: coord0 += d0*sg0*VW + vc0
v_cmp_lt_u32 s[54:55], v4, s[sgprSizeI]            // coord0 < size0
v_cmp_lt_u32 s[58:59], v1, s[sgprSizeJ]            // coord1 < size1
s_and_b64 s[58:59], s[54:55], s[58:59]             // in0 && in1
_v_add_lshl_u32 v159, v3, v4, 0x1                  // scaleToBpe: accumulate d0 lower and *= bpe into Cin addr
v_cndmask_b32 v159, -1, v159, s[58:59]             // LDD clip if OOB. offset
/* (d1,vc1,d0,vc0)=(1,1,7,0) */
s_mov_b32 s54, 112                                 // coordOffset0 d0=7 vc0=0
_v_add_co_u32 v4, vcc, v0, s54                     // coord0.2: coord0 += d0*sg0*VW + vc0
v_cmp_lt_u32 s[54:55], v4, s[sgprSizeI]            // coord0 < size0
v_cmp_lt_u32 s[58:59], v1, s[sgprSizeJ]            // coord1 < size1
s_and_b64 s[58:59], s[54:55], s[58:59]             // in0 && in1
_v_add_lshl_u32 v176, v3, v4, 0x1                  // scaleToBpe: accumulate d0 lower and *= bpe into Cin addr
v_cndmask_b32 v176, -1, v176, s[58:59]             // LDD clip if OOB. offset
/* (d1,vc1,d0,vc0)=(1,1,8,0) */
s_mov_b32 s54, 128                                 // coordOffset0 d0=8 vc0=0
_v_add_co_u32 v4, vcc, v0, s54                     // coord0.2: coord0 += d0*sg0*VW + vc0
v_cmp_lt_u32 s[54:55], v4, s[sgprSizeI]            // coord0 < size0
v_cmp_lt_u32 s[58:59], v1, s[sgprSizeJ]            // coord1 < size1
s_and_b64 s[58:59], s[54:55], s[58:59]             // in0 && in1
_v_add_lshl_u32 v177, v3, v4, 0x1                  // scaleToBpe: accumulate d0 lower and *= bpe into Cin addr
v_cndmask_b32 v177, -1, v177, s[58:59]             // LDD clip if OOB. offset
v_accvgpr_read_b32 v[vgprValuC+8], acc0 // copy acc to vreg[0]
v_accvgpr_read_b32 v[vgprValuC+9], acc1 // copy acc to vreg[1]
v_accvgpr_read_b32 v[vgprValuC+10], acc2 // copy acc to vreg[2]
v_accvgpr_read_b32 v[vgprValuC+11], acc3 // copy acc to vreg[3]
v_accvgpr_read_b32 v[vgprValuC+12], acc4 // copy acc to vreg[4]
v_accvgpr_read_b32 v[vgprValuC+13], acc5 // copy acc to vreg[5]
v_accvgpr_read_b32 v[vgprValuC+14], acc6 // copy acc to vreg[6]
v_accvgpr_read_b32 v[vgprValuC+15], acc7 // copy acc to vreg[7]
v_accvgpr_read_b32 v[vgprValuC+20], acc8 // copy acc to vreg[8]
v_accvgpr_read_b32 v[vgprValuC+21], acc9 // copy acc to vreg[9]
v_accvgpr_read_b32 v[vgprValuC+22], acc10 // copy acc to vreg[10]
v_accvgpr_read_b32 v[vgprValuC+23], acc11 // copy acc to vreg[11]
v_accvgpr_read_b32 v[vgprValuC+24], acc12 // copy acc to vreg[12]
v_accvgpr_read_b32 v[vgprValuC+25], acc13 // copy acc to vreg[13]
v_accvgpr_read_b32 v[vgprValuC+26], acc14 // copy acc to vreg[14]
v_accvgpr_read_b32 v[vgprValuC+27], acc15 // copy acc to vreg[15]
v_accvgpr_read_b32 v[vgprValuC+28], acc16 // copy acc to vreg[16]
v_accvgpr_read_b32 v[vgprValuC+29], acc17 // copy acc to vreg[17]
v_accvgpr_read_b32 v[vgprValuC+30], acc18 // copy acc to vreg[18]
v_accvgpr_read_b32 v[vgprValuC+31], acc19 // copy acc to vreg[19]
v_accvgpr_read_b32 v[vgprValuC+32], acc20 // copy acc to vreg[20]
v_accvgpr_read_b32 v[vgprValuC+33], acc21 // copy acc to vreg[21]
v_accvgpr_read_b32 v[vgprValuC+34], acc22 // copy acc to vreg[22]
v_accvgpr_read_b32 v[vgprValuC+35], acc23 // copy acc to vreg[23]
v_accvgpr_read_b32 v[vgprValuC+40], acc24 // copy acc to vreg[24]
v_accvgpr_read_b32 v[vgprValuC+41], acc25 // copy acc to vreg[25]
v_accvgpr_read_b32 v[vgprValuC+42], acc26 // copy acc to vreg[26]
v_accvgpr_read_b32 v[vgprValuC+43], acc27 // copy acc to vreg[27]
v_accvgpr_read_b32 v[vgprValuC+44], acc28 // copy acc to vreg[28]
v_accvgpr_read_b32 v[vgprValuC+45], acc29 // copy acc to vreg[29]
v_accvgpr_read_b32 v[vgprValuC+46], acc30 // copy acc to vreg[30]
v_accvgpr_read_b32 v[vgprValuC+47], acc31 // copy acc to vreg[31]
v_accvgpr_read_b32 v[vgprValuC+48], acc32 // copy acc to vreg[32]
v_accvgpr_read_b32 v[vgprValuC+49], acc33 // copy acc to vreg[33]
v_accvgpr_read_b32 v[vgprValuC+50], acc34 // copy acc to vreg[34]
v_accvgpr_read_b32 v[vgprValuC+51], acc35 // copy acc to vreg[35]
v_accvgpr_read_b32 v[vgprValuC+52], acc36 // copy acc to vreg[36]
v_accvgpr_read_b32 v[vgprValuC+53], acc37 // copy acc to vreg[37]
v_accvgpr_read_b32 v[vgprValuC+54], acc38 // copy acc to vreg[38]
v_accvgpr_read_b32 v[vgprValuC+55], acc39 // copy acc to vreg[39]
v_accvgpr_read_b32 v[vgprValuC+60], acc40 // copy acc to vreg[40]
v_accvgpr_read_b32 v[vgprValuC+61], acc41 // copy acc to vreg[41]
v_accvgpr_read_b32 v[vgprValuC+62], acc42 // copy acc to vreg[42]
v_accvgpr_read_b32 v[vgprValuC+63], acc43 // copy acc to vreg[43]
v_accvgpr_read_b32 v[vgprValuC+64], acc44 // copy acc to vreg[44]
v_accvgpr_read_b32 v[vgprValuC+65], acc45 // copy acc to vreg[45]
v_accvgpr_read_b32 v[vgprValuC+66], acc46 // copy acc to vreg[46]
v_accvgpr_read_b32 v[vgprValuC+67], acc47 // copy acc to vreg[47]
v_accvgpr_read_b32 v[vgprValuC+68], acc48 // copy acc to vreg[48]
v_accvgpr_read_b32 v[vgprValuC+69], acc49 // copy acc to vreg[49]
v_accvgpr_read_b32 v[vgprValuC+70], acc50 // copy acc to vreg[50]
v_accvgpr_read_b32 v[vgprValuC+71], acc51 // copy acc to vreg[51]
v_accvgpr_read_b32 v[vgprValuC+72], acc52 // copy acc to vreg[52]
v_accvgpr_read_b32 v[vgprValuC+73], acc53 // copy acc to vreg[53]
v_accvgpr_read_b32 v[vgprValuC+74], acc54 // copy acc to vreg[54]
v_accvgpr_read_b32 v[vgprValuC+75], acc55 // copy acc to vreg[55]
v_accvgpr_read_b32 v[vgprValuC+80], acc56 // copy acc to vreg[56]
v_accvgpr_read_b32 v[vgprValuC+81], acc57 // copy acc to vreg[57]
v_accvgpr_read_b32 v[vgprValuC+82], acc58 // copy acc to vreg[58]
v_accvgpr_read_b32 v[vgprValuC+83], acc59 // copy acc to vreg[59]
v_accvgpr_read_b32 v[vgprValuC+84], acc60 // copy acc to vreg[60]
v_accvgpr_read_b32 v[vgprValuC+85], acc61 // copy acc to vreg[61]
v_accvgpr_read_b32 v[vgprValuC+86], acc62 // copy acc to vreg[62]
v_accvgpr_read_b32 v[vgprValuC+87], acc63 // copy acc to vreg[63]
v_accvgpr_read_b32 v[vgprValuC+88], acc64 // copy acc to vreg[64]
v_accvgpr_read_b32 v[vgprValuC+89], acc65 // copy acc to vreg[65]
v_accvgpr_read_b32 v[vgprValuC+90], acc66 // copy acc to vreg[66]
v_accvgpr_read_b32 v[vgprValuC+91], acc67 // copy acc to vreg[67]
v_accvgpr_read_b32 v[vgprValuC+92], acc68 // copy acc to vreg[68]
v_accvgpr_read_b32 v[vgprValuC+93], acc69 // copy acc to vreg[69]
v_accvgpr_read_b32 v[vgprValuC+94], acc70 // copy acc to vreg[70]
v_accvgpr_read_b32 v[vgprValuC+95], acc71 // copy acc to vreg[71]
v_accvgpr_read_b32 v[vgprValuC+100], acc72 // copy acc to vreg[72]
v_accvgpr_read_b32 v[vgprValuC+101], acc73 // copy acc to vreg[73]
v_accvgpr_read_b32 v[vgprValuC+102], acc74 // copy acc to vreg[74]
v_accvgpr_read_b32 v[vgprValuC+103], acc75 // copy acc to vreg[75]
v_accvgpr_read_b32 v[vgprValuC+104], acc76 // copy acc to vreg[76]
v_accvgpr_read_b32 v[vgprValuC+105], acc77 // copy acc to vreg[77]
v_accvgpr_read_b32 v[vgprValuC+106], acc78 // copy acc to vreg[78]
v_accvgpr_read_b32 v[vgprValuC+107], acc79 // copy acc to vreg[79]
v_accvgpr_read_b32 v[vgprValuC+108], acc80 // copy acc to vreg[80]
v_accvgpr_read_b32 v[vgprValuC+109], acc81 // copy acc to vreg[81]
v_accvgpr_read_b32 v[vgprValuC+110], acc82 // copy acc to vreg[82]
v_accvgpr_read_b32 v[vgprValuC+111], acc83 // copy acc to vreg[83]
v_accvgpr_read_b32 v[vgprValuC+112], acc84 // copy acc to vreg[84]
v_accvgpr_read_b32 v[vgprValuC+113], acc85 // copy acc to vreg[85]
v_accvgpr_read_b32 v[vgprValuC+114], acc86 // copy acc to vreg[86]
v_accvgpr_read_b32 v[vgprValuC+115], acc87 // copy acc to vreg[87]
v_accvgpr_read_b32 v[vgprValuC+120], acc88 // copy acc to vreg[88]
v_accvgpr_read_b32 v[vgprValuC+121], acc89 // copy acc to vreg[89]
v_accvgpr_read_b32 v[vgprValuC+122], acc90 // copy acc to vreg[90]
v_accvgpr_read_b32 v[vgprValuC+123], acc91 // copy acc to vreg[91]
v_accvgpr_read_b32 v[vgprValuC+124], acc92 // copy acc to vreg[92]
v_accvgpr_read_b32 v[vgprValuC+125], acc93 // copy acc to vreg[93]
v_accvgpr_read_b32 v[vgprValuC+126], acc94 // copy acc to vreg[94]
v_accvgpr_read_b32 v[vgprValuC+127], acc95 // copy acc to vreg[95]
v_accvgpr_read_b32 v[vgprValuC+128], acc96 // copy acc to vreg[96]
v_accvgpr_read_b32 v[vgprValuC+129], acc97 // copy acc to vreg[97]
v_accvgpr_read_b32 v[vgprValuC+130], acc98 // copy acc to vreg[98]
v_accvgpr_read_b32 v[vgprValuC+131], acc99 // copy acc to vreg[99]
v_accvgpr_read_b32 v[vgprValuC+132], acc100 // copy acc to vreg[100]
v_accvgpr_read_b32 v[vgprValuC+133], acc101 // copy acc to vreg[101]
v_accvgpr_read_b32 v[vgprValuC+134], acc102 // copy acc to vreg[102]
v_accvgpr_read_b32 v[vgprValuC+135], acc103 // copy acc to vreg[103]
v_accvgpr_read_b32 v[vgprValuC+140], acc104 // copy acc to vreg[104]
v_accvgpr_read_b32 v[vgprValuC+141], acc105 // copy acc to vreg[105]
v_accvgpr_read_b32 v[vgprValuC+142], acc106 // copy acc to vreg[106]
v_accvgpr_read_b32 v[vgprValuC+143], acc107 // copy acc to vreg[107]
v_accvgpr_read_b32 v[vgprValuC+144], acc108 // copy acc to vreg[108]
v_accvgpr_read_b32 v[vgprValuC+145], acc109 // copy acc to vreg[109]
v_accvgpr_read_b32 v[vgprValuC+146], acc110 // copy acc to vreg[110]
v_accvgpr_read_b32 v[vgprValuC+147], acc111 // copy acc to vreg[111]
v_accvgpr_read_b32 v[vgprValuC+148], acc112 // copy acc to vreg[112]
v_accvgpr_read_b32 v[vgprValuC+149], acc113 // copy acc to vreg[113]
v_accvgpr_read_b32 v[vgprValuC+150], acc114 // copy acc to vreg[114]
v_accvgpr_read_b32 v[vgprValuC+151], acc115 // copy acc to vreg[115]
v_accvgpr_read_b32 v[vgprValuC+152], acc116 // copy acc to vreg[116]
v_accvgpr_read_b32 v[vgprValuC+153], acc117 // copy acc to vreg[117]
v_accvgpr_read_b32 v[vgprValuC+154], acc118 // copy acc to vreg[118]
v_accvgpr_read_b32 v[vgprValuC+155], acc119 // copy acc to vreg[119]
v_accvgpr_read_b32 v[vgprValuC+160], acc120 // copy acc to vreg[120]
v_accvgpr_read_b32 v[vgprValuC+161], acc121 // copy acc to vreg[121]
v_accvgpr_read_b32 v[vgprValuC+162], acc122 // copy acc to vreg[122]
v_accvgpr_read_b32 v[vgprValuC+163], acc123 // copy acc to vreg[123]
v_accvgpr_read_b32 v[vgprValuC+164], acc124 // copy acc to vreg[124]
v_accvgpr_read_b32 v[vgprValuC+165], acc125 // copy acc to vreg[125]
v_accvgpr_read_b32 v[vgprValuC+166], acc126 // copy acc to vreg[126]
v_accvgpr_read_b32 v[vgprValuC+167], acc127 // copy acc to vreg[127]
v_accvgpr_read_b32 v[vgprValuC+168], acc128 // copy acc to vreg[128]
v_accvgpr_read_b32 v[vgprValuC+169], acc129 // copy acc to vreg[129]
v_accvgpr_read_b32 v[vgprValuC+170], acc130 // copy acc to vreg[130]
v_accvgpr_read_b32 v[vgprValuC+171], acc131 // copy acc to vreg[131]
v_accvgpr_read_b32 v[vgprValuC+172], acc132 // copy acc to vreg[132]
v_accvgpr_read_b32 v[vgprValuC+173], acc133 // copy acc to vreg[133]
v_accvgpr_read_b32 v[vgprValuC+174], acc134 // copy acc to vreg[134]
v_accvgpr_read_b32 v[vgprValuC+175], acc135 // copy acc to vreg[135]
v_accvgpr_read_b32 v[vgprValuC+180], acc136 // copy acc to vreg[136]
v_accvgpr_read_b32 v[vgprValuC+181], acc137 // copy acc to vreg[137]
v_accvgpr_read_b32 v[vgprValuC+182], acc138 // copy acc to vreg[138]
v_accvgpr_read_b32 v[vgprValuC+183], acc139 // copy acc to vreg[139]
v_accvgpr_read_b32 v[vgprValuC+184], acc140 // copy acc to vreg[140]
v_accvgpr_read_b32 v[vgprValuC+185], acc141 // copy acc to vreg[141]
v_accvgpr_read_b32 v[vgprValuC+186], acc142 // copy acc to vreg[142]
v_accvgpr_read_b32 v[vgprValuC+187], acc143 // copy acc to vreg[143]
s_nop 1                                            // 2 wait states required before reading vgpr

/* rC *= alpha batchElements=[(0, 0, 0, 0), (0, 1, 0, 0), (0, 2, 0, 0), (0, 3, 0, 0), (0, 4, 0, 0), (0, 5, 0, 0), (0, 6, 0, 0), (0, 7, 0, 0), (0, 8, 0, 0), (0, 0, 1, 0), (0, 1, 1, 0), (0, 2, 1, 0), (0, 3, 1, 0), (0, 4, 1, 0), (0, 5, 1, 0), (0, 6, 1, 0), (0, 7, 1, 0), (0, 8, 1, 0), (1, 0, 0, 0), (1, 1, 0, 0), (1, 2, 0, 0), (1, 3, 0, 0), (1, 4, 0, 0), (1, 5, 0, 0), (1, 6, 0, 0), (1, 7, 0, 0), (1, 8, 0, 0), (1, 0, 1, 0), (1, 1, 1, 0), (1, 2, 1, 0), (1, 3, 1, 0), (1, 4, 1, 0), (1, 5, 1, 0), (1, 6, 1, 0), (1, 7, 1, 0), (1, 8, 1, 0)] */
v_mul_f32 v[vgprValuC+8], s[sgprAlpha], v[vgprValuC+8] // *= alpha
v_mul_f32 v[vgprValuC+9], s[sgprAlpha], v[vgprValuC+9] // *= alpha
	;; [unrolled: 1-line block ×144, first 2 shown]

/* apply mask, calc new C and issue writes */
v_cvt_f16_f32 v[vgprValuC+8], v[vgprValuC+8]       // convert C to fp16
v_cvt_f16_f32 v[vgprValuC+9], v[vgprValuC+9]       // convert C to fp16
v_pack_b32_f16 v8, v[vgprValuC+8], v[vgprValuC+9]  // Pack with neighbor
v_cvt_f16_f32 v[vgprValuC+10], v[vgprValuC+10]     // convert C to fp16
v_cvt_f16_f32 v[vgprValuC+11], v[vgprValuC+11]     // convert C to fp16
v_pack_b32_f16 v9, v[vgprValuC+10], v[vgprValuC+11] // Pack with neighbor
_buffer_store_b64 v[8:9], v6, s[sgprSrdD:sgprSrdD+3], 0, offen, offset:0 // store D
v_cvt_f16_f32 v[vgprValuC+12], v[vgprValuC+12]     // convert C to fp16
v_cvt_f16_f32 v[vgprValuC+13], v[vgprValuC+13]     // convert C to fp16
v_pack_b32_f16 v12, v[vgprValuC+12], v[vgprValuC+13] // Pack with neighbor
v_cvt_f16_f32 v[vgprValuC+14], v[vgprValuC+14]     // convert C to fp16
v_cvt_f16_f32 v[vgprValuC+15], v[vgprValuC+15]     // convert C to fp16
v_pack_b32_f16 v13, v[vgprValuC+14], v[vgprValuC+15] // Pack with neighbor
_buffer_store_b64 v[12:13], v7, s[sgprSrdD:sgprSrdD+3], 0, offen, offset:0 // store D
v_cvt_f16_f32 v[vgprValuC+20], v[vgprValuC+20]     // convert C to fp16
v_cvt_f16_f32 v[vgprValuC+21], v[vgprValuC+21]     // convert C to fp16
v_pack_b32_f16 v20, v[vgprValuC+20], v[vgprValuC+21] // Pack with neighbor
	;; [unrolled: 7-line block ×17, first 2 shown]
v_cvt_f16_f32 v[vgprValuC+94], v[vgprValuC+94]     // convert C to fp16
v_cvt_f16_f32 v[vgprValuC+95], v[vgprValuC+95]     // convert C to fp16
v_pack_b32_f16 v93, v[vgprValuC+94], v[vgprValuC+95] // Pack with neighbor
_buffer_store_b64 v[92:93], v79, s[sgprSrdD:sgprSrdD+3], 0, offen, offset:0 // store D
v_cvt_f16_f32 v[vgprValuC+100], v[vgprValuC+100]   // convert C to fp16
v_cvt_f16_f32 v[vgprValuC+101], v[vgprValuC+101]   // convert C to fp16
v_pack_b32_f16 v100, v[vgprValuC+100], v[vgprValuC+101] // Pack with neighbor
v_cvt_f16_f32 v[vgprValuC+102], v[vgprValuC+102]   // convert C to fp16
v_cvt_f16_f32 v[vgprValuC+103], v[vgprValuC+103]   // convert C to fp16
v_pack_b32_f16 v101, v[vgprValuC+102], v[vgprValuC+103] // Pack with neighbor
_buffer_store_b64 v[100:101], v96, s[sgprSrdD:sgprSrdD+3], 0, offen, offset:0 // store D
v_cvt_f16_f32 v[vgprValuC+104], v[vgprValuC+104]   // convert C to fp16
v_cvt_f16_f32 v[vgprValuC+105], v[vgprValuC+105]   // convert C to fp16
v_pack_b32_f16 v104, v[vgprValuC+104], v[vgprValuC+105] // Pack with neighbor
v_cvt_f16_f32 v[vgprValuC+106], v[vgprValuC+106]   // convert C to fp16
v_cvt_f16_f32 v[vgprValuC+107], v[vgprValuC+107]   // convert C to fp16
	;; [unrolled: 7-line block ×18, first 2 shown]
v_pack_b32_f16 v185, v[vgprValuC+186], v[vgprValuC+187] // Pack with neighbor
_buffer_store_b64 v[184:185], v177, s[sgprSrdD:sgprSrdD+3], 0, offen, offset:0 // store D
s_nop 0                                            // 1 wait state required when next inst writes vgprs held by previous dwordx4 store inst
s_branch label_GW_End_42                           // jump to end
GW_Beta_43:
s_mov_b32 s57, 0x0                                 // STATIC_DIV: divisior=144
s_mul_i32 s56, 0x38e, s[sgprSizeI]                 // tmp1 = dividend * magic hi
s_lshl_b64 s[56:57], s[56:57], 0x10                // left shift 16 bits
s_mul_i32 s55, s[sgprSizeI], 0x38e4                // tmp0 = dividend * magic lo
s_add_u32 s56, s55, s56                            // add lo
s_addc_u32 s57, s57, 0x0                           // add hi
s_lshr_b64 s[56:57], s[56:57], 0x21                // tmp1 = (dividend * magic) << shift
s_mov_b32 s55, s56                                 // quotient
s_mul_i32 s56, s55, 0x90                           // quotient*divisor
s_sub_u32 s54, s[sgprSizeI], s56                   // rReg = dividend - quotient*divisor
s_add_u32 s55, -0x1, s[sgprNumWorkGroups0]         // 
s_cmp_ge_u32 s[sgprWorkGroup0], s55                // wg0 >= nwg0-1 ?
s_cselect_b32 s54, s54, 0                          // set rMT0
s_cmpk_gt_u32 s54, 0x0                             // rMT0 > 0
s_cbranch_scc1 GW_B1_E1_41                         // jump if edges required
s_and_b32 s54, 255, s[sgprSizeJ]                   // s54 = s[sgprSizeJ] % 256
s_add_u32 s55, -0x1, s[sgprNumWorkGroups1]         // 
s_cmp_ge_u32 s[sgprWorkGroup1], s55                // wg1 >= nwg1-1
s_cselect_b32 s54, s54, 0                          // set rMT1
s_cmpk_gt_u32 s54, 0x0                             // rMT1 > 0
s_cbranch_scc1 GW_B1_E1_41                         // jump if edges required
GW_B1_E0_38:

/* edge=0, allocate 2 sgpr. perBatchTmpS=2 perBatchMaskS=0 perElementMaskS=0 elementsPerBatch=40 */
/* optSingleColVgpr=1 optSharedColVgpr=0 optSGPRUsage=BufferLoad_Mask optSrdIncForRow=1 */

/******************************************/
/* Global Write Alpha Beta Batch #0 (d1,d0,vc1,vc0) = */
/*    (0,0,0,0:vw4); (0,1,0,0:vw4); (0,2,0,0:vw4); (0,3,0,0:vw4); (0,4,0,0:vw4); (0,5,0,0:vw4); (0,6,0,0:vw4); (0,7,0,0:vw4); (0,8,0,0:vw4); (0,0,1,0:vw4); (0,1,1,0:vw4); (0,2,1,0:vw4); (0,3,1,0:vw4); (0,4,1,0:vw4); (0,5,1,0:vw4); (0,6,1,0:vw4); (0,7,1,0:vw4); (0,8,1,0:vw4); (1,0,0,0:vw4); (1,1,0,0:vw4); (1,2,0,0:vw4); (1,3,0,0:vw4); (1,4,0,0:vw4); (1,5,0,0:vw4); (1,6,0,0:vw4); (1,7,0,0:vw4); (1,8,0,0:vw4); (1,0,1,0:vw4); (1,1,1,0:vw4); (1,2,1,0:vw4); (1,3,1,0:vw4); (1,4,1,0:vw4); (1,5,1,0:vw4); (1,6,1,0:vw4); (1,7,1,0:vw4); (1,8,1,0:vw4) */
/******************************************/

/* calc coords, apply mask, and issue loads (if necessary) */
/* (d1,vc1,d0,vc0)=(0,0,0,0) */
_v_add_lshl_u32 v7, v2, v0, 0x1                    // optSingleColVgpr scaleToBpe: sharedAddrVgpr <- cinRowPtr + coord0, scaled by BPE. BSHERE:coord0=0, coord0Vgpr=0
_buffer_load_b64 v[8:9], v7, s[sgprSrdC:sgprSrdC+3], 0, offen offset:0 // load C for beta calc
/* (d1,vc1,d0,vc0)=(0,0,1,0) */
_buffer_load_b64 v[10:11], v7, s[sgprSrdC:sgprSrdC+3], 0, offen offset:32 // load C for beta calc
/* (d1,vc1,d0,vc0)=(0,0,2,0) */
	;; [unrolled: 2-line block ×9, first 2 shown]
s_lshl_b32  s54, s[sgprStrideC1J], 1               // incToNextRow: Scale by BPE
s_add_u32  s[sgprSrdC+0], s[sgprSrdC+0], s54       // incToNextRow: gra SRD += inc(lower)
s_addc_u32  s[sgprSrdC+1], s[sgprSrdC+1], 0        // incToNextRow: gra SRD += inc(upper)
_buffer_load_b64 v[58:59], v7, s[sgprSrdC:sgprSrdC+3], 0, offen offset:0 // load C for beta calc
/* (d1,vc1,d0,vc0)=(0,1,1,0) */
_buffer_load_b64 v[68:69], v7, s[sgprSrdC:sgprSrdC+3], 0, offen offset:32 // load C for beta calc
/* (d1,vc1,d0,vc0)=(0,1,2,0) */
	;; [unrolled: 2-line block ×9, first 2 shown]
s_mul_i32 s54, s[sgprStrideC1J], 254               // scale StrideC *= numRows(127) * bpe
s_add_u32  s[sgprSrdC+0], s[sgprSrdC+0], s54       // incToNextRow: gra SRD += inc(lower)
s_addc_u32  s[sgprSrdC+1], s[sgprSrdC+1], 0        // incToNextRow: gra SRD += inc(upper)
_buffer_load_b64 v[116:117], v7, s[sgprSrdC:sgprSrdC+3], 0, offen offset:0 // load C for beta calc
/* (d1,vc1,d0,vc0)=(1,0,1,0) */
_buffer_load_b64 v[118:119], v7, s[sgprSrdC:sgprSrdC+3], 0, offen offset:32 // load C for beta calc
/* (d1,vc1,d0,vc0)=(1,0,2,0) */
	;; [unrolled: 2-line block ×9, first 2 shown]
s_lshl_b32  s54, s[sgprStrideC1J], 1               // incToNextRow: Scale by BPE
s_add_u32  s[sgprSrdC+0], s[sgprSrdC+0], s54       // incToNextRow: gra SRD += inc(lower)
s_addc_u32  s[sgprSrdC+1], s[sgprSrdC+1], 0        // incToNextRow: gra SRD += inc(upper)
_buffer_load_b64 v[166:167], v7, s[sgprSrdC:sgprSrdC+3], 0, offen offset:0 // load C for beta calc
/* (d1,vc1,d0,vc0)=(1,1,1,0) */
_buffer_load_b64 v[176:177], v7, s[sgprSrdC:sgprSrdC+3], 0, offen offset:32 // load C for beta calc
/* (d1,vc1,d0,vc0)=(1,1,2,0) */
	;; [unrolled: 2-line block ×8, first 2 shown]
_buffer_load_b64 v[210:211], v7, s[sgprSrdC:sgprSrdC+3], 0, offen offset:256 // load C for beta calc
_v_add_lshl_u32 v6, v3, v0, 0x1                    // optSingleColVgpr scaleToBpe: sharedAddrVgpr <- cinRowPtr + coord0, scaled by BPE. BSHERE:coord0=0, coord0Vgpr=0
v_accvgpr_read_b32 v[vgprValuC+12], acc0 // copy acc to vreg[0]
v_accvgpr_read_b32 v[vgprValuC+13], acc1 // copy acc to vreg[1]
v_accvgpr_read_b32 v[vgprValuC+14], acc2 // copy acc to vreg[2]
v_accvgpr_read_b32 v[vgprValuC+15], acc3 // copy acc to vreg[3]
v_accvgpr_read_b32 v[vgprValuC+16], acc4 // copy acc to vreg[4]
v_accvgpr_read_b32 v[vgprValuC+17], acc5 // copy acc to vreg[5]
v_accvgpr_read_b32 v[vgprValuC+18], acc6 // copy acc to vreg[6]
v_accvgpr_read_b32 v[vgprValuC+19], acc7 // copy acc to vreg[7]
v_accvgpr_read_b32 v[vgprValuC+24], acc8 // copy acc to vreg[8]
v_accvgpr_read_b32 v[vgprValuC+25], acc9 // copy acc to vreg[9]
v_accvgpr_read_b32 v[vgprValuC+26], acc10 // copy acc to vreg[10]
v_accvgpr_read_b32 v[vgprValuC+27], acc11 // copy acc to vreg[11]
v_accvgpr_read_b32 v[vgprValuC+28], acc12 // copy acc to vreg[12]
v_accvgpr_read_b32 v[vgprValuC+29], acc13 // copy acc to vreg[13]
v_accvgpr_read_b32 v[vgprValuC+30], acc14 // copy acc to vreg[14]
v_accvgpr_read_b32 v[vgprValuC+31], acc15 // copy acc to vreg[15]
v_accvgpr_read_b32 v[vgprValuC+36], acc16 // copy acc to vreg[16]
v_accvgpr_read_b32 v[vgprValuC+37], acc17 // copy acc to vreg[17]
v_accvgpr_read_b32 v[vgprValuC+38], acc18 // copy acc to vreg[18]
v_accvgpr_read_b32 v[vgprValuC+39], acc19 // copy acc to vreg[19]
v_accvgpr_read_b32 v[vgprValuC+40], acc20 // copy acc to vreg[20]
v_accvgpr_read_b32 v[vgprValuC+41], acc21 // copy acc to vreg[21]
v_accvgpr_read_b32 v[vgprValuC+42], acc22 // copy acc to vreg[22]
v_accvgpr_read_b32 v[vgprValuC+43], acc23 // copy acc to vreg[23]
v_accvgpr_read_b32 v[vgprValuC+48], acc24 // copy acc to vreg[24]
v_accvgpr_read_b32 v[vgprValuC+49], acc25 // copy acc to vreg[25]
v_accvgpr_read_b32 v[vgprValuC+50], acc26 // copy acc to vreg[26]
v_accvgpr_read_b32 v[vgprValuC+51], acc27 // copy acc to vreg[27]
v_accvgpr_read_b32 v[vgprValuC+52], acc28 // copy acc to vreg[28]
v_accvgpr_read_b32 v[vgprValuC+53], acc29 // copy acc to vreg[29]
v_accvgpr_read_b32 v[vgprValuC+54], acc30 // copy acc to vreg[30]
v_accvgpr_read_b32 v[vgprValuC+55], acc31 // copy acc to vreg[31]
v_accvgpr_read_b32 v[vgprValuC+60], acc32 // copy acc to vreg[32]
v_accvgpr_read_b32 v[vgprValuC+61], acc33 // copy acc to vreg[33]
v_accvgpr_read_b32 v[vgprValuC+62], acc34 // copy acc to vreg[34]
v_accvgpr_read_b32 v[vgprValuC+63], acc35 // copy acc to vreg[35]
v_accvgpr_read_b32 v[vgprValuC+64], acc36 // copy acc to vreg[36]
v_accvgpr_read_b32 v[vgprValuC+65], acc37 // copy acc to vreg[37]
v_accvgpr_read_b32 v[vgprValuC+66], acc38 // copy acc to vreg[38]
v_accvgpr_read_b32 v[vgprValuC+67], acc39 // copy acc to vreg[39]
v_accvgpr_read_b32 v[vgprValuC+72], acc40 // copy acc to vreg[40]
v_accvgpr_read_b32 v[vgprValuC+73], acc41 // copy acc to vreg[41]
v_accvgpr_read_b32 v[vgprValuC+74], acc42 // copy acc to vreg[42]
v_accvgpr_read_b32 v[vgprValuC+75], acc43 // copy acc to vreg[43]
v_accvgpr_read_b32 v[vgprValuC+76], acc44 // copy acc to vreg[44]
v_accvgpr_read_b32 v[vgprValuC+77], acc45 // copy acc to vreg[45]
v_accvgpr_read_b32 v[vgprValuC+78], acc46 // copy acc to vreg[46]
v_accvgpr_read_b32 v[vgprValuC+79], acc47 // copy acc to vreg[47]
v_accvgpr_read_b32 v[vgprValuC+84], acc48 // copy acc to vreg[48]
v_accvgpr_read_b32 v[vgprValuC+85], acc49 // copy acc to vreg[49]
v_accvgpr_read_b32 v[vgprValuC+86], acc50 // copy acc to vreg[50]
v_accvgpr_read_b32 v[vgprValuC+87], acc51 // copy acc to vreg[51]
v_accvgpr_read_b32 v[vgprValuC+88], acc52 // copy acc to vreg[52]
v_accvgpr_read_b32 v[vgprValuC+89], acc53 // copy acc to vreg[53]
v_accvgpr_read_b32 v[vgprValuC+90], acc54 // copy acc to vreg[54]
v_accvgpr_read_b32 v[vgprValuC+91], acc55 // copy acc to vreg[55]
v_accvgpr_read_b32 v[vgprValuC+96], acc56 // copy acc to vreg[56]
v_accvgpr_read_b32 v[vgprValuC+97], acc57 // copy acc to vreg[57]
v_accvgpr_read_b32 v[vgprValuC+98], acc58 // copy acc to vreg[58]
v_accvgpr_read_b32 v[vgprValuC+99], acc59 // copy acc to vreg[59]
v_accvgpr_read_b32 v[vgprValuC+100], acc60 // copy acc to vreg[60]
v_accvgpr_read_b32 v[vgprValuC+101], acc61 // copy acc to vreg[61]
v_accvgpr_read_b32 v[vgprValuC+102], acc62 // copy acc to vreg[62]
v_accvgpr_read_b32 v[vgprValuC+103], acc63 // copy acc to vreg[63]
v_accvgpr_read_b32 v[vgprValuC+108], acc64 // copy acc to vreg[64]
v_accvgpr_read_b32 v[vgprValuC+109], acc65 // copy acc to vreg[65]
v_accvgpr_read_b32 v[vgprValuC+110], acc66 // copy acc to vreg[66]
v_accvgpr_read_b32 v[vgprValuC+111], acc67 // copy acc to vreg[67]
v_accvgpr_read_b32 v[vgprValuC+112], acc68 // copy acc to vreg[68]
v_accvgpr_read_b32 v[vgprValuC+113], acc69 // copy acc to vreg[69]
v_accvgpr_read_b32 v[vgprValuC+114], acc70 // copy acc to vreg[70]
v_accvgpr_read_b32 v[vgprValuC+115], acc71 // copy acc to vreg[71]
v_accvgpr_read_b32 v[vgprValuC+120], acc72 // copy acc to vreg[72]
v_accvgpr_read_b32 v[vgprValuC+121], acc73 // copy acc to vreg[73]
v_accvgpr_read_b32 v[vgprValuC+122], acc74 // copy acc to vreg[74]
v_accvgpr_read_b32 v[vgprValuC+123], acc75 // copy acc to vreg[75]
v_accvgpr_read_b32 v[vgprValuC+124], acc76 // copy acc to vreg[76]
v_accvgpr_read_b32 v[vgprValuC+125], acc77 // copy acc to vreg[77]
v_accvgpr_read_b32 v[vgprValuC+126], acc78 // copy acc to vreg[78]
v_accvgpr_read_b32 v[vgprValuC+127], acc79 // copy acc to vreg[79]
v_accvgpr_read_b32 v[vgprValuC+132], acc80 // copy acc to vreg[80]
v_accvgpr_read_b32 v[vgprValuC+133], acc81 // copy acc to vreg[81]
v_accvgpr_read_b32 v[vgprValuC+134], acc82 // copy acc to vreg[82]
v_accvgpr_read_b32 v[vgprValuC+135], acc83 // copy acc to vreg[83]
v_accvgpr_read_b32 v[vgprValuC+136], acc84 // copy acc to vreg[84]
v_accvgpr_read_b32 v[vgprValuC+137], acc85 // copy acc to vreg[85]
v_accvgpr_read_b32 v[vgprValuC+138], acc86 // copy acc to vreg[86]
v_accvgpr_read_b32 v[vgprValuC+139], acc87 // copy acc to vreg[87]
v_accvgpr_read_b32 v[vgprValuC+144], acc88 // copy acc to vreg[88]
v_accvgpr_read_b32 v[vgprValuC+145], acc89 // copy acc to vreg[89]
v_accvgpr_read_b32 v[vgprValuC+146], acc90 // copy acc to vreg[90]
v_accvgpr_read_b32 v[vgprValuC+147], acc91 // copy acc to vreg[91]
v_accvgpr_read_b32 v[vgprValuC+148], acc92 // copy acc to vreg[92]
v_accvgpr_read_b32 v[vgprValuC+149], acc93 // copy acc to vreg[93]
v_accvgpr_read_b32 v[vgprValuC+150], acc94 // copy acc to vreg[94]
v_accvgpr_read_b32 v[vgprValuC+151], acc95 // copy acc to vreg[95]
v_accvgpr_read_b32 v[vgprValuC+156], acc96 // copy acc to vreg[96]
v_accvgpr_read_b32 v[vgprValuC+157], acc97 // copy acc to vreg[97]
v_accvgpr_read_b32 v[vgprValuC+158], acc98 // copy acc to vreg[98]
v_accvgpr_read_b32 v[vgprValuC+159], acc99 // copy acc to vreg[99]
v_accvgpr_read_b32 v[vgprValuC+160], acc100 // copy acc to vreg[100]
v_accvgpr_read_b32 v[vgprValuC+161], acc101 // copy acc to vreg[101]
v_accvgpr_read_b32 v[vgprValuC+162], acc102 // copy acc to vreg[102]
v_accvgpr_read_b32 v[vgprValuC+163], acc103 // copy acc to vreg[103]
v_accvgpr_read_b32 v[vgprValuC+168], acc104 // copy acc to vreg[104]
v_accvgpr_read_b32 v[vgprValuC+169], acc105 // copy acc to vreg[105]
v_accvgpr_read_b32 v[vgprValuC+170], acc106 // copy acc to vreg[106]
v_accvgpr_read_b32 v[vgprValuC+171], acc107 // copy acc to vreg[107]
v_accvgpr_read_b32 v[vgprValuC+172], acc108 // copy acc to vreg[108]
v_accvgpr_read_b32 v[vgprValuC+173], acc109 // copy acc to vreg[109]
v_accvgpr_read_b32 v[vgprValuC+174], acc110 // copy acc to vreg[110]
v_accvgpr_read_b32 v[vgprValuC+175], acc111 // copy acc to vreg[111]
v_accvgpr_read_b32 v[vgprValuC+180], acc112 // copy acc to vreg[112]
v_accvgpr_read_b32 v[vgprValuC+181], acc113 // copy acc to vreg[113]
v_accvgpr_read_b32 v[vgprValuC+182], acc114 // copy acc to vreg[114]
v_accvgpr_read_b32 v[vgprValuC+183], acc115 // copy acc to vreg[115]
v_accvgpr_read_b32 v[vgprValuC+184], acc116 // copy acc to vreg[116]
v_accvgpr_read_b32 v[vgprValuC+185], acc117 // copy acc to vreg[117]
v_accvgpr_read_b32 v[vgprValuC+186], acc118 // copy acc to vreg[118]
v_accvgpr_read_b32 v[vgprValuC+187], acc119 // copy acc to vreg[119]
v_accvgpr_read_b32 v[vgprValuC+192], acc120 // copy acc to vreg[120]
v_accvgpr_read_b32 v[vgprValuC+193], acc121 // copy acc to vreg[121]
v_accvgpr_read_b32 v[vgprValuC+194], acc122 // copy acc to vreg[122]
v_accvgpr_read_b32 v[vgprValuC+195], acc123 // copy acc to vreg[123]
v_accvgpr_read_b32 v[vgprValuC+196], acc124 // copy acc to vreg[124]
v_accvgpr_read_b32 v[vgprValuC+197], acc125 // copy acc to vreg[125]
v_accvgpr_read_b32 v[vgprValuC+198], acc126 // copy acc to vreg[126]
v_accvgpr_read_b32 v[vgprValuC+199], acc127 // copy acc to vreg[127]
v_accvgpr_read_b32 v[vgprValuC+212], acc128 // copy acc to vreg[128]
v_accvgpr_read_b32 v[vgprValuC+213], acc129 // copy acc to vreg[129]
v_accvgpr_read_b32 v[vgprValuC+214], acc130 // copy acc to vreg[130]
v_accvgpr_read_b32 v[vgprValuC+215], acc131 // copy acc to vreg[131]
v_accvgpr_read_b32 v[vgprValuC+216], acc132 // copy acc to vreg[132]
v_accvgpr_read_b32 v[vgprValuC+217], acc133 // copy acc to vreg[133]
v_accvgpr_read_b32 v[vgprValuC+218], acc134 // copy acc to vreg[134]
v_accvgpr_read_b32 v[vgprValuC+219], acc135 // copy acc to vreg[135]
v_accvgpr_read_b32 v[vgprValuC+220], acc136 // copy acc to vreg[136]
v_accvgpr_read_b32 v[vgprValuC+221], acc137 // copy acc to vreg[137]
v_accvgpr_read_b32 v[vgprValuC+222], acc138 // copy acc to vreg[138]
v_accvgpr_read_b32 v[vgprValuC+223], acc139 // copy acc to vreg[139]
v_accvgpr_read_b32 v[vgprValuC+224], acc140 // copy acc to vreg[140]
v_accvgpr_read_b32 v[vgprValuC+225], acc141 // copy acc to vreg[141]
v_accvgpr_read_b32 v[vgprValuC+226], acc142 // copy acc to vreg[142]
v_accvgpr_read_b32 v[vgprValuC+227], acc143 // copy acc to vreg[143]
s_nop 1                                            // 2 wait states required before reading vgpr

/* rC *= alpha batchElements=[(0, 0, 0, 0), (0, 1, 0, 0), (0, 2, 0, 0), (0, 3, 0, 0), (0, 4, 0, 0), (0, 5, 0, 0), (0, 6, 0, 0), (0, 7, 0, 0), (0, 8, 0, 0), (0, 0, 1, 0), (0, 1, 1, 0), (0, 2, 1, 0), (0, 3, 1, 0), (0, 4, 1, 0), (0, 5, 1, 0), (0, 6, 1, 0), (0, 7, 1, 0), (0, 8, 1, 0), (1, 0, 0, 0), (1, 1, 0, 0), (1, 2, 0, 0), (1, 3, 0, 0), (1, 4, 0, 0), (1, 5, 0, 0), (1, 6, 0, 0), (1, 7, 0, 0), (1, 8, 0, 0), (1, 0, 1, 0), (1, 1, 1, 0), (1, 2, 1, 0), (1, 3, 1, 0), (1, 4, 1, 0), (1, 5, 1, 0), (1, 6, 1, 0), (1, 7, 1, 0), (1, 8, 1, 0)] */
v_mul_f32 v[vgprValuC+12], s[sgprAlpha], v[vgprValuC+12] // *= alpha
v_mul_f32 v[vgprValuC+13], s[sgprAlpha], v[vgprValuC+13] // *= alpha
	;; [unrolled: 1-line block ×144, first 2 shown]

/* apply mask, calc new C and issue writes */

s_waitcnt vmcnt(35)                                // wait C (interleaved) 35 = 36 - 0 + 0 - 1
v_fma_mix_f32 v[vgprValuC+12], s[sgprBeta], v8, v[vgprValuC+12], op_sel:[0,0,0] op_sel_hi:[0,1,0] // //C*=beta
v_fma_mix_f32 v[vgprValuC+13], s[sgprBeta], v8, v[vgprValuC+13], op_sel:[0,1,0] op_sel_hi:[0,1,0] // //C*=beta
v_fma_mix_f32 v[vgprValuC+14], s[sgprBeta], v9, v[vgprValuC+14], op_sel:[0,0,0] op_sel_hi:[0,1,0] // //C*=beta
v_fma_mix_f32 v[vgprValuC+15], s[sgprBeta], v9, v[vgprValuC+15], op_sel:[0,1,0] op_sel_hi:[0,1,0] // //C*=beta
v_cvt_f16_f32 v[vgprValuC+12], v[vgprValuC+12]     // convert C to fp16
v_cvt_f16_f32 v[vgprValuC+13], v[vgprValuC+13]     // convert C to fp16
v_pack_b32_f16 v12, v[vgprValuC+12], v[vgprValuC+13] // Pack with neighbor
v_cvt_f16_f32 v[vgprValuC+14], v[vgprValuC+14]     // convert C to fp16
v_cvt_f16_f32 v[vgprValuC+15], v[vgprValuC+15]     // convert C to fp16
v_pack_b32_f16 v13, v[vgprValuC+14], v[vgprValuC+15] // Pack with neighbor
_buffer_store_b64 v[12:13], v6, s[sgprSrdD:sgprSrdD+3], 0, offen, offset:0 // store D

s_waitcnt vmcnt(35)                                // wait C (interleaved) 35 = 36 - 1 + 1 - 1
v_fma_mix_f32 v[vgprValuC+16], s[sgprBeta], v10, v[vgprValuC+16], op_sel:[0,0,0] op_sel_hi:[0,1,0] // //C*=beta
v_fma_mix_f32 v[vgprValuC+17], s[sgprBeta], v10, v[vgprValuC+17], op_sel:[0,1,0] op_sel_hi:[0,1,0] // //C*=beta
v_fma_mix_f32 v[vgprValuC+18], s[sgprBeta], v11, v[vgprValuC+18], op_sel:[0,0,0] op_sel_hi:[0,1,0] // //C*=beta
v_fma_mix_f32 v[vgprValuC+19], s[sgprBeta], v11, v[vgprValuC+19], op_sel:[0,1,0] op_sel_hi:[0,1,0] // //C*=beta
v_cvt_f16_f32 v[vgprValuC+16], v[vgprValuC+16]     // convert C to fp16
v_cvt_f16_f32 v[vgprValuC+17], v[vgprValuC+17]     // convert C to fp16
v_pack_b32_f16 v16, v[vgprValuC+16], v[vgprValuC+17] // Pack with neighbor
v_cvt_f16_f32 v[vgprValuC+18], v[vgprValuC+18]     // convert C to fp16
v_cvt_f16_f32 v[vgprValuC+19], v[vgprValuC+19]     // convert C to fp16
v_pack_b32_f16 v17, v[vgprValuC+18], v[vgprValuC+19] // Pack with neighbor
_buffer_store_b64 v[16:17], v6, s[sgprSrdD:sgprSrdD+3], 0, offen, offset:32 // store D
	;; [unrolled: 13-line block ×9, first 2 shown]

s_waitcnt vmcnt(35)                                // wait C (interleaved) 35 = 36 - 9 + 9 - 1
v_fma_mix_f32 v[vgprValuC+64], s[sgprBeta], v58, v[vgprValuC+64], op_sel:[0,0,0] op_sel_hi:[0,1,0] // //C*=beta
v_fma_mix_f32 v[vgprValuC+65], s[sgprBeta], v58, v[vgprValuC+65], op_sel:[0,1,0] op_sel_hi:[0,1,0] // //C*=beta
	;; [unrolled: 1-line block ×4, first 2 shown]
v_cvt_f16_f32 v[vgprValuC+64], v[vgprValuC+64]     // convert C to fp16
v_cvt_f16_f32 v[vgprValuC+65], v[vgprValuC+65]     // convert C to fp16
v_pack_b32_f16 v64, v[vgprValuC+64], v[vgprValuC+65] // Pack with neighbor
v_cvt_f16_f32 v[vgprValuC+66], v[vgprValuC+66]     // convert C to fp16
v_cvt_f16_f32 v[vgprValuC+67], v[vgprValuC+67]     // convert C to fp16
v_pack_b32_f16 v65, v[vgprValuC+66], v[vgprValuC+67] // Pack with neighbor
s_lshl_b32  s54, s[sgprStrideD1J], 1               // incToNextRow: Scale by BPE
s_add_u32  s[sgprSrdD+0], s[sgprSrdD+0], s54       // incToNextRow: gra SRD += inc(lower)
s_addc_u32  s[sgprSrdD+1], s[sgprSrdD+1], 0        // incToNextRow: gra SRD += inc(upper)
_buffer_store_b64 v[64:65], v6, s[sgprSrdD:sgprSrdD+3], 0, offen, offset:0 // store D

s_waitcnt vmcnt(35)                                // wait C (interleaved) 35 = 36 - 10 + 10 - 1
v_fma_mix_f32 v[vgprValuC+72], s[sgprBeta], v68, v[vgprValuC+72], op_sel:[0,0,0] op_sel_hi:[0,1,0] // //C*=beta
v_fma_mix_f32 v[vgprValuC+73], s[sgprBeta], v68, v[vgprValuC+73], op_sel:[0,1,0] op_sel_hi:[0,1,0] // //C*=beta
v_fma_mix_f32 v[vgprValuC+74], s[sgprBeta], v69, v[vgprValuC+74], op_sel:[0,0,0] op_sel_hi:[0,1,0] // //C*=beta
v_fma_mix_f32 v[vgprValuC+75], s[sgprBeta], v69, v[vgprValuC+75], op_sel:[0,1,0] op_sel_hi:[0,1,0] // //C*=beta
v_cvt_f16_f32 v[vgprValuC+72], v[vgprValuC+72]     // convert C to fp16
v_cvt_f16_f32 v[vgprValuC+73], v[vgprValuC+73]     // convert C to fp16
v_pack_b32_f16 v72, v[vgprValuC+72], v[vgprValuC+73] // Pack with neighbor
v_cvt_f16_f32 v[vgprValuC+74], v[vgprValuC+74]     // convert C to fp16
v_cvt_f16_f32 v[vgprValuC+75], v[vgprValuC+75]     // convert C to fp16
v_pack_b32_f16 v73, v[vgprValuC+74], v[vgprValuC+75] // Pack with neighbor
_buffer_store_b64 v[72:73], v6, s[sgprSrdD:sgprSrdD+3], 0, offen, offset:32 // store D

s_waitcnt vmcnt(35)                                // wait C (interleaved) 35 = 36 - 11 + 11 - 1
v_fma_mix_f32 v[vgprValuC+76], s[sgprBeta], v70, v[vgprValuC+76], op_sel:[0,0,0] op_sel_hi:[0,1,0] // //C*=beta
v_fma_mix_f32 v[vgprValuC+77], s[sgprBeta], v70, v[vgprValuC+77], op_sel:[0,1,0] op_sel_hi:[0,1,0] // //C*=beta
v_fma_mix_f32 v[vgprValuC+78], s[sgprBeta], v71, v[vgprValuC+78], op_sel:[0,0,0] op_sel_hi:[0,1,0] // //C*=beta
v_fma_mix_f32 v[vgprValuC+79], s[sgprBeta], v71, v[vgprValuC+79], op_sel:[0,1,0] op_sel_hi:[0,1,0] // //C*=beta
v_cvt_f16_f32 v[vgprValuC+76], v[vgprValuC+76]     // convert C to fp16
v_cvt_f16_f32 v[vgprValuC+77], v[vgprValuC+77]     // convert C to fp16
v_pack_b32_f16 v76, v[vgprValuC+76], v[vgprValuC+77] // Pack with neighbor
v_cvt_f16_f32 v[vgprValuC+78], v[vgprValuC+78]     // convert C to fp16
v_cvt_f16_f32 v[vgprValuC+79], v[vgprValuC+79]     // convert C to fp16
v_pack_b32_f16 v77, v[vgprValuC+78], v[vgprValuC+79] // Pack with neighbor
	;; [unrolled: 13-line block ×5, first 2 shown]
_buffer_store_b64 v[96:97], v6, s[sgprSrdD:sgprSrdD+3], 0, offen, offset:160 // store D

s_waitcnt vmcnt(35)                                // wait C (interleaved) 35 = 36 - 15 + 15 - 1
v_fma_mix_f32 v[vgprValuC+100], s[sgprBeta], v94, v[vgprValuC+100], op_sel:[0,0,0] op_sel_hi:[0,1,0] // //C*=beta
v_fma_mix_f32 v[vgprValuC+101], s[sgprBeta], v94, v[vgprValuC+101], op_sel:[0,1,0] op_sel_hi:[0,1,0] // //C*=beta
v_fma_mix_f32 v[vgprValuC+102], s[sgprBeta], v95, v[vgprValuC+102], op_sel:[0,0,0] op_sel_hi:[0,1,0] // //C*=beta
v_fma_mix_f32 v[vgprValuC+103], s[sgprBeta], v95, v[vgprValuC+103], op_sel:[0,1,0] op_sel_hi:[0,1,0] // //C*=beta
v_cvt_f16_f32 v[vgprValuC+100], v[vgprValuC+100]   // convert C to fp16
v_cvt_f16_f32 v[vgprValuC+101], v[vgprValuC+101]   // convert C to fp16
v_pack_b32_f16 v100, v[vgprValuC+100], v[vgprValuC+101] // Pack with neighbor
v_cvt_f16_f32 v[vgprValuC+102], v[vgprValuC+102]   // convert C to fp16
v_cvt_f16_f32 v[vgprValuC+103], v[vgprValuC+103]   // convert C to fp16
v_pack_b32_f16 v101, v[vgprValuC+102], v[vgprValuC+103] // Pack with neighbor
_buffer_store_b64 v[100:101], v6, s[sgprSrdD:sgprSrdD+3], 0, offen, offset:192 // store D

s_waitcnt vmcnt(35)                                // wait C (interleaved) 35 = 36 - 16 + 16 - 1
v_fma_mix_f32 v[vgprValuC+108], s[sgprBeta], v104, v[vgprValuC+108], op_sel:[0,0,0] op_sel_hi:[0,1,0] // //C*=beta
v_fma_mix_f32 v[vgprValuC+109], s[sgprBeta], v104, v[vgprValuC+109], op_sel:[0,1,0] op_sel_hi:[0,1,0] // //C*=beta
v_fma_mix_f32 v[vgprValuC+110], s[sgprBeta], v105, v[vgprValuC+110], op_sel:[0,0,0] op_sel_hi:[0,1,0] // //C*=beta
v_fma_mix_f32 v[vgprValuC+111], s[sgprBeta], v105, v[vgprValuC+111], op_sel:[0,1,0] op_sel_hi:[0,1,0] // //C*=beta
v_cvt_f16_f32 v[vgprValuC+108], v[vgprValuC+108]   // convert C to fp16
v_cvt_f16_f32 v[vgprValuC+109], v[vgprValuC+109]   // convert C to fp16
v_pack_b32_f16 v108, v[vgprValuC+108], v[vgprValuC+109] // Pack with neighbor
v_cvt_f16_f32 v[vgprValuC+110], v[vgprValuC+110]   // convert C to fp16
v_cvt_f16_f32 v[vgprValuC+111], v[vgprValuC+111]   // convert C to fp16
v_pack_b32_f16 v109, v[vgprValuC+110], v[vgprValuC+111] // Pack with neighbor
	;; [unrolled: 13-line block ×4, first 2 shown]
s_mul_i32 s54, s[sgprStrideD1J], 254               // scale StrideD *= numRows(127) * bpe
s_add_u32  s[sgprSrdD+0], s[sgprSrdD+0], s54       // incToNextRow: gra SRD += inc(lower)
s_addc_u32  s[sgprSrdD+1], s[sgprSrdD+1], 0        // incToNextRow: gra SRD += inc(upper)
_buffer_store_b64 v[120:121], v6, s[sgprSrdD:sgprSrdD+3], 0, offen, offset:0 // store D

s_waitcnt vmcnt(35)                                // wait C (interleaved) 35 = 36 - 19 + 19 - 1
v_fma_mix_f32 v[vgprValuC+124], s[sgprBeta], v118, v[vgprValuC+124], op_sel:[0,0,0] op_sel_hi:[0,1,0] // //C*=beta
v_fma_mix_f32 v[vgprValuC+125], s[sgprBeta], v118, v[vgprValuC+125], op_sel:[0,1,0] op_sel_hi:[0,1,0] // //C*=beta
v_fma_mix_f32 v[vgprValuC+126], s[sgprBeta], v119, v[vgprValuC+126], op_sel:[0,0,0] op_sel_hi:[0,1,0] // //C*=beta
v_fma_mix_f32 v[vgprValuC+127], s[sgprBeta], v119, v[vgprValuC+127], op_sel:[0,1,0] op_sel_hi:[0,1,0] // //C*=beta
v_cvt_f16_f32 v[vgprValuC+124], v[vgprValuC+124]   // convert C to fp16
v_cvt_f16_f32 v[vgprValuC+125], v[vgprValuC+125]   // convert C to fp16
v_pack_b32_f16 v124, v[vgprValuC+124], v[vgprValuC+125] // Pack with neighbor
v_cvt_f16_f32 v[vgprValuC+126], v[vgprValuC+126]   // convert C to fp16
v_cvt_f16_f32 v[vgprValuC+127], v[vgprValuC+127]   // convert C to fp16
v_pack_b32_f16 v125, v[vgprValuC+126], v[vgprValuC+127] // Pack with neighbor
_buffer_store_b64 v[124:125], v6, s[sgprSrdD:sgprSrdD+3], 0, offen, offset:32 // store D

s_waitcnt vmcnt(35)                                // wait C (interleaved) 35 = 36 - 20 + 20 - 1
v_fma_mix_f32 v[vgprValuC+132], s[sgprBeta], v128, v[vgprValuC+132], op_sel:[0,0,0] op_sel_hi:[0,1,0] // //C*=beta
v_fma_mix_f32 v[vgprValuC+133], s[sgprBeta], v128, v[vgprValuC+133], op_sel:[0,1,0] op_sel_hi:[0,1,0] // //C*=beta
v_fma_mix_f32 v[vgprValuC+134], s[sgprBeta], v129, v[vgprValuC+134], op_sel:[0,0,0] op_sel_hi:[0,1,0] // //C*=beta
v_fma_mix_f32 v[vgprValuC+135], s[sgprBeta], v129, v[vgprValuC+135], op_sel:[0,1,0] op_sel_hi:[0,1,0] // //C*=beta
v_cvt_f16_f32 v[vgprValuC+132], v[vgprValuC+132]   // convert C to fp16
v_cvt_f16_f32 v[vgprValuC+133], v[vgprValuC+133]   // convert C to fp16
v_pack_b32_f16 v132, v[vgprValuC+132], v[vgprValuC+133] // Pack with neighbor
v_cvt_f16_f32 v[vgprValuC+134], v[vgprValuC+134]   // convert C to fp16
v_cvt_f16_f32 v[vgprValuC+135], v[vgprValuC+135]   // convert C to fp16
v_pack_b32_f16 v133, v[vgprValuC+134], v[vgprValuC+135] // Pack with neighbor
	;; [unrolled: 13-line block ×9, first 2 shown]
s_lshl_b32  s54, s[sgprStrideD1J], 1               // incToNextRow: Scale by BPE
s_add_u32  s[sgprSrdD+0], s[sgprSrdD+0], s54       // incToNextRow: gra SRD += inc(lower)
s_addc_u32  s[sgprSrdD+1], s[sgprSrdD+1], 0        // incToNextRow: gra SRD += inc(upper)
_buffer_store_b64 v[172:173], v6, s[sgprSrdD:sgprSrdD+3], 0, offen, offset:0 // store D

s_waitcnt vmcnt(35)                                // wait C (interleaved) 35 = 36 - 28 + 28 - 1
v_fma_mix_f32 v[vgprValuC+180], s[sgprBeta], v176, v[vgprValuC+180], op_sel:[0,0,0] op_sel_hi:[0,1,0] // //C*=beta
v_fma_mix_f32 v[vgprValuC+181], s[sgprBeta], v176, v[vgprValuC+181], op_sel:[0,1,0] op_sel_hi:[0,1,0] // //C*=beta
v_fma_mix_f32 v[vgprValuC+182], s[sgprBeta], v177, v[vgprValuC+182], op_sel:[0,0,0] op_sel_hi:[0,1,0] // //C*=beta
v_fma_mix_f32 v[vgprValuC+183], s[sgprBeta], v177, v[vgprValuC+183], op_sel:[0,1,0] op_sel_hi:[0,1,0] // //C*=beta
v_cvt_f16_f32 v[vgprValuC+180], v[vgprValuC+180]   // convert C to fp16
v_cvt_f16_f32 v[vgprValuC+181], v[vgprValuC+181]   // convert C to fp16
v_pack_b32_f16 v180, v[vgprValuC+180], v[vgprValuC+181] // Pack with neighbor
v_cvt_f16_f32 v[vgprValuC+182], v[vgprValuC+182]   // convert C to fp16
v_cvt_f16_f32 v[vgprValuC+183], v[vgprValuC+183]   // convert C to fp16
v_pack_b32_f16 v181, v[vgprValuC+182], v[vgprValuC+183] // Pack with neighbor
_buffer_store_b64 v[180:181], v6, s[sgprSrdD:sgprSrdD+3], 0, offen, offset:32 // store D

s_waitcnt vmcnt(35)                                // wait C (interleaved) 35 = 36 - 29 + 29 - 1
v_fma_mix_f32 v[vgprValuC+184], s[sgprBeta], v178, v[vgprValuC+184], op_sel:[0,0,0] op_sel_hi:[0,1,0] // //C*=beta
v_fma_mix_f32 v[vgprValuC+185], s[sgprBeta], v178, v[vgprValuC+185], op_sel:[0,1,0] op_sel_hi:[0,1,0] // //C*=beta
v_fma_mix_f32 v[vgprValuC+186], s[sgprBeta], v179, v[vgprValuC+186], op_sel:[0,0,0] op_sel_hi:[0,1,0] // //C*=beta
v_fma_mix_f32 v[vgprValuC+187], s[sgprBeta], v179, v[vgprValuC+187], op_sel:[0,1,0] op_sel_hi:[0,1,0] // //C*=beta
v_cvt_f16_f32 v[vgprValuC+184], v[vgprValuC+184]   // convert C to fp16
v_cvt_f16_f32 v[vgprValuC+185], v[vgprValuC+185]   // convert C to fp16
v_pack_b32_f16 v184, v[vgprValuC+184], v[vgprValuC+185] // Pack with neighbor
v_cvt_f16_f32 v[vgprValuC+186], v[vgprValuC+186]   // convert C to fp16
v_cvt_f16_f32 v[vgprValuC+187], v[vgprValuC+187]   // convert C to fp16
v_pack_b32_f16 v185, v[vgprValuC+186], v[vgprValuC+187] // Pack with neighbor
_buffer_store_b64 v[184:185], v6, s[sgprSrdD:sgprSrdD+3], 0, offen, offset:64 // store D

s_waitcnt vmcnt(35)                                // wait C (interleaved) 35 = 36 - 30 + 30 - 1
v_fma_mix_f32 v[vgprValuC+192], s[sgprBeta], v188, v[vgprValuC+192], op_sel:[0,0,0] op_sel_hi:[0,1,0] // //C*=beta
v_fma_mix_f32 v[vgprValuC+193], s[sgprBeta], v188, v[vgprValuC+193], op_sel:[0,1,0] op_sel_hi:[0,1,0] // //C*=beta
v_fma_mix_f32 v[vgprValuC+194], s[sgprBeta], v189, v[vgprValuC+194], op_sel:[0,0,0] op_sel_hi:[0,1,0] // //C*=beta
v_fma_mix_f32 v[vgprValuC+195], s[sgprBeta], v189, v[vgprValuC+195], op_sel:[0,1,0] op_sel_hi:[0,1,0] // //C*=beta
v_cvt_f16_f32 v[vgprValuC+192], v[vgprValuC+192]   // convert C to fp16
v_cvt_f16_f32 v[vgprValuC+193], v[vgprValuC+193]   // convert C to fp16
v_pack_b32_f16 v192, v[vgprValuC+192], v[vgprValuC+193] // Pack with neighbor
v_cvt_f16_f32 v[vgprValuC+194], v[vgprValuC+194]   // convert C to fp16
v_cvt_f16_f32 v[vgprValuC+195], v[vgprValuC+195]   // convert C to fp16
v_pack_b32_f16 v193, v[vgprValuC+194], v[vgprValuC+195] // Pack with neighbor
_buffer_store_b64 v[192:193], v6, s[sgprSrdD:sgprSrdD+3], 0, offen, offset:96 // store D

s_waitcnt vmcnt(35)                                // wait C (interleaved) 35 = 36 - 31 + 31 - 1
v_fma_mix_f32 v[vgprValuC+196], s[sgprBeta], v190, v[vgprValuC+196], op_sel:[0,0,0] op_sel_hi:[0,1,0] // //C*=beta
v_fma_mix_f32 v[vgprValuC+197], s[sgprBeta], v190, v[vgprValuC+197], op_sel:[0,1,0] op_sel_hi:[0,1,0] // //C*=beta
v_fma_mix_f32 v[vgprValuC+198], s[sgprBeta], v191, v[vgprValuC+198], op_sel:[0,0,0] op_sel_hi:[0,1,0] // //C*=beta
v_fma_mix_f32 v[vgprValuC+199], s[sgprBeta], v191, v[vgprValuC+199], op_sel:[0,1,0] op_sel_hi:[0,1,0] // //C*=beta
v_cvt_f16_f32 v[vgprValuC+196], v[vgprValuC+196]   // convert C to fp16
v_cvt_f16_f32 v[vgprValuC+197], v[vgprValuC+197]   // convert C to fp16
v_pack_b32_f16 v196, v[vgprValuC+196], v[vgprValuC+197] // Pack with neighbor
v_cvt_f16_f32 v[vgprValuC+198], v[vgprValuC+198]   // convert C to fp16
v_cvt_f16_f32 v[vgprValuC+199], v[vgprValuC+199]   // convert C to fp16
v_pack_b32_f16 v197, v[vgprValuC+198], v[vgprValuC+199] // Pack with neighbor
_buffer_store_b64 v[196:197], v6, s[sgprSrdD:sgprSrdD+3], 0, offen, offset:128 // store D

s_waitcnt vmcnt(35)                                // wait C (interleaved) 35 = 36 - 32 + 32 - 1
v_fma_mix_f32 v[vgprValuC+212], s[sgprBeta], v200, v[vgprValuC+212], op_sel:[0,0,0] op_sel_hi:[0,1,0] // //C*=beta
v_fma_mix_f32 v[vgprValuC+213], s[sgprBeta], v200, v[vgprValuC+213], op_sel:[0,1,0] op_sel_hi:[0,1,0] // //C*=beta
v_fma_mix_f32 v[vgprValuC+214], s[sgprBeta], v201, v[vgprValuC+214], op_sel:[0,0,0] op_sel_hi:[0,1,0] // //C*=beta
v_fma_mix_f32 v[vgprValuC+215], s[sgprBeta], v201, v[vgprValuC+215], op_sel:[0,1,0] op_sel_hi:[0,1,0] // //C*=beta
v_cvt_f16_f32 v[vgprValuC+212], v[vgprValuC+212]   // convert C to fp16
v_cvt_f16_f32 v[vgprValuC+213], v[vgprValuC+213]   // convert C to fp16
v_pack_b32_f16 v212, v[vgprValuC+212], v[vgprValuC+213] // Pack with neighbor
v_cvt_f16_f32 v[vgprValuC+214], v[vgprValuC+214]   // convert C to fp16
v_cvt_f16_f32 v[vgprValuC+215], v[vgprValuC+215]   // convert C to fp16
v_pack_b32_f16 v213, v[vgprValuC+214], v[vgprValuC+215] // Pack with neighbor
_buffer_store_b64 v[212:213], v6, s[sgprSrdD:sgprSrdD+3], 0, offen, offset:160 // store D

s_waitcnt vmcnt(35)                                // wait C (interleaved) 35 = 36 - 33 + 33 - 1
v_fma_mix_f32 v[vgprValuC+216], s[sgprBeta], v202, v[vgprValuC+216], op_sel:[0,0,0] op_sel_hi:[0,1,0] // //C*=beta
v_fma_mix_f32 v[vgprValuC+217], s[sgprBeta], v202, v[vgprValuC+217], op_sel:[0,1,0] op_sel_hi:[0,1,0] // //C*=beta
v_fma_mix_f32 v[vgprValuC+218], s[sgprBeta], v203, v[vgprValuC+218], op_sel:[0,0,0] op_sel_hi:[0,1,0] // //C*=beta
v_fma_mix_f32 v[vgprValuC+219], s[sgprBeta], v203, v[vgprValuC+219], op_sel:[0,1,0] op_sel_hi:[0,1,0] // //C*=beta
v_cvt_f16_f32 v[vgprValuC+216], v[vgprValuC+216]   // convert C to fp16
v_cvt_f16_f32 v[vgprValuC+217], v[vgprValuC+217]   // convert C to fp16
v_pack_b32_f16 v216, v[vgprValuC+216], v[vgprValuC+217] // Pack with neighbor
v_cvt_f16_f32 v[vgprValuC+218], v[vgprValuC+218]   // convert C to fp16
v_cvt_f16_f32 v[vgprValuC+219], v[vgprValuC+219]   // convert C to fp16
v_pack_b32_f16 v217, v[vgprValuC+218], v[vgprValuC+219] // Pack with neighbor
_buffer_store_b64 v[216:217], v6, s[sgprSrdD:sgprSrdD+3], 0, offen, offset:192 // store D

s_waitcnt vmcnt(35)                                // wait C (interleaved) 35 = 36 - 34 + 34 - 1
v_fma_mix_f32 v[vgprValuC+220], s[sgprBeta], v204, v[vgprValuC+220], op_sel:[0,0,0] op_sel_hi:[0,1,0] // //C*=beta
v_fma_mix_f32 v[vgprValuC+221], s[sgprBeta], v204, v[vgprValuC+221], op_sel:[0,1,0] op_sel_hi:[0,1,0] // //C*=beta
v_fma_mix_f32 v[vgprValuC+222], s[sgprBeta], v205, v[vgprValuC+222], op_sel:[0,0,0] op_sel_hi:[0,1,0] // //C*=beta
v_fma_mix_f32 v[vgprValuC+223], s[sgprBeta], v205, v[vgprValuC+223], op_sel:[0,1,0] op_sel_hi:[0,1,0] // //C*=beta
v_cvt_f16_f32 v[vgprValuC+220], v[vgprValuC+220]   // convert C to fp16
v_cvt_f16_f32 v[vgprValuC+221], v[vgprValuC+221]   // convert C to fp16
v_pack_b32_f16 v220, v[vgprValuC+220], v[vgprValuC+221] // Pack with neighbor
v_cvt_f16_f32 v[vgprValuC+222], v[vgprValuC+222]   // convert C to fp16
v_cvt_f16_f32 v[vgprValuC+223], v[vgprValuC+223]   // convert C to fp16
v_pack_b32_f16 v221, v[vgprValuC+222], v[vgprValuC+223] // Pack with neighbor
_buffer_store_b64 v[220:221], v6, s[sgprSrdD:sgprSrdD+3], 0, offen, offset:224 // store D

s_waitcnt vmcnt(35)                                // wait C (interleaved) 35 = 36 - 35 + 35 - 1
v_fma_mix_f32 v[vgprValuC+224], s[sgprBeta], v210, v[vgprValuC+224], op_sel:[0,0,0] op_sel_hi:[0,1,0] // //C*=beta
v_fma_mix_f32 v[vgprValuC+225], s[sgprBeta], v210, v[vgprValuC+225], op_sel:[0,1,0] op_sel_hi:[0,1,0] // //C*=beta
v_fma_mix_f32 v[vgprValuC+226], s[sgprBeta], v211, v[vgprValuC+226], op_sel:[0,0,0] op_sel_hi:[0,1,0] // //C*=beta
v_fma_mix_f32 v[vgprValuC+227], s[sgprBeta], v211, v[vgprValuC+227], op_sel:[0,1,0] op_sel_hi:[0,1,0] // //C*=beta
v_cvt_f16_f32 v[vgprValuC+224], v[vgprValuC+224]   // convert C to fp16
v_cvt_f16_f32 v[vgprValuC+225], v[vgprValuC+225]   // convert C to fp16
v_pack_b32_f16 v224, v[vgprValuC+224], v[vgprValuC+225] // Pack with neighbor
v_cvt_f16_f32 v[vgprValuC+226], v[vgprValuC+226]   // convert C to fp16
v_cvt_f16_f32 v[vgprValuC+227], v[vgprValuC+227]   // convert C to fp16
v_pack_b32_f16 v225, v[vgprValuC+226], v[vgprValuC+227] // Pack with neighbor
_buffer_store_b64 v[224:225], v6, s[sgprSrdD:sgprSrdD+3], 0, offen, offset:256 // store D
s_nop 0                                            // 1 wait state required when next inst writes vgprs held by previous dwordx4 store inst
s_branch label_GW_End_42                           // jump to end
GW_B1_E1_41:

/* edge=1, allocate 6 sgpr. perBatchTmpS=4 perBatchMaskS=2 perElementMaskS=0 elementsPerBatch=34 */
/* optSingleColVgpr=0 optSharedColVgpr=0 optSGPRUsage=BufferLoad_Edge_Mask optSrdIncForRow=0 */

/******************************************/
/* Global Write Alpha Beta Edge Batch #0 (d1,d0,vc1,vc0) = */
/*    (0,0,0,0:vw4); (0,1,0,0:vw4); (0,2,0,0:vw4); (0,3,0,0:vw4); (0,4,0,0:vw4); (0,5,0,0:vw4); (0,6,0,0:vw4); (0,7,0,0:vw4); (0,8,0,0:vw4); (0,0,1,0:vw4); (0,1,1,0:vw4); (0,2,1,0:vw4); (0,3,1,0:vw4); (0,4,1,0:vw4); (0,5,1,0:vw4); (0,6,1,0:vw4); (0,7,1,0:vw4); (0,8,1,0:vw4); (1,0,0,0:vw4); (1,1,0,0:vw4); (1,2,0,0:vw4); (1,3,0,0:vw4); (1,4,0,0:vw4); (1,5,0,0:vw4); (1,6,0,0:vw4); (1,7,0,0:vw4); (1,8,0,0:vw4); (1,0,1,0:vw4); (1,1,1,0:vw4); (1,2,1,0:vw4); (1,3,1,0:vw4); (1,4,1,0:vw4); (1,5,1,0:vw4); (1,6,1,0:vw4) */
/******************************************/

/* calc coords, apply mask, and issue loads (if necessary) */
/* (d1,vc1,d0,vc0)=(0,0,0,0) */
v_cmp_lt_u32 s[54:55], v0, s[sgprSizeI]            // coord0 < size0
v_cmp_lt_u32 s[58:59], v1, s[sgprSizeJ]            // coord1 < size1
s_and_b64 s[58:59], s[54:55], s[58:59]             // in0 && in1
_v_add_lshl_u32 v6, v2, v0, 0x1                    // scaleToBpe: accumulate d0 lower and *= bpe into Cin addr
v_cndmask_b32 v6, -1, v6, s[58:59]                 // LDC clip if OOB. offset
_buffer_load_b64 v[8:9], v6, s[sgprSrdC:sgprSrdC+3], 0, offen offset:0 // load C for beta calc
_v_add_lshl_u32 v6, v3, v0, 0x1                    // scaleToBpe: accumulate d0 lower and *= bpe into Cin addr
v_cndmask_b32 v6, -1, v6, s[58:59]                 // LDD clip if OOB. offset
/* (d1,vc1,d0,vc0)=(0,0,1,0) */
_v_add_co_u32 v4, vcc, v0, 16                      // coord0.1: coord0 += d0*sg0*VW + vc0
v_cmp_lt_u32 s[54:55], v4, s[sgprSizeI]            // coord0 < size0
v_cmp_lt_u32 s[58:59], v1, s[sgprSizeJ]            // coord1 < size1
s_and_b64 s[58:59], s[54:55], s[58:59]             // in0 && in1
_v_add_lshl_u32 v7, v2, v4, 0x1                    // scaleToBpe: accumulate d0 lower and *= bpe into Cin addr
v_cndmask_b32 v7, -1, v7, s[58:59]                 // LDC clip if OOB. offset
_buffer_load_b64 v[10:11], v7, s[sgprSrdC:sgprSrdC+3], 0, offen offset:0 // load C for beta calc
_v_add_lshl_u32 v7, v3, v4, 0x1                    // scaleToBpe: accumulate d0 lower and *= bpe into Cin addr
v_cndmask_b32 v7, -1, v7, s[58:59]                 // LDD clip if OOB. offset
/* (d1,vc1,d0,vc0)=(0,0,2,0) */
_v_add_co_u32 v4, vcc, v0, 32                      // coord0.1: coord0 += d0*sg0*VW + vc0
v_cmp_lt_u32 s[54:55], v4, s[sgprSizeI]            // coord0 < size0
v_cmp_lt_u32 s[58:59], v1, s[sgprSizeJ]            // coord1 < size1
s_and_b64 s[58:59], s[54:55], s[58:59]             // in0 && in1
_v_add_lshl_u32 v20, v2, v4, 0x1                   // scaleToBpe: accumulate d0 lower and *= bpe into Cin addr
v_cndmask_b32 v20, -1, v20, s[58:59]               // LDC clip if OOB. offset
_buffer_load_b64 v[22:23], v20, s[sgprSrdC:sgprSrdC+3], 0, offen offset:0 // load C for beta calc
_v_add_lshl_u32 v20, v3, v4, 0x1                   // scaleToBpe: accumulate d0 lower and *= bpe into Cin addr
v_cndmask_b32 v20, -1, v20, s[58:59]               // LDD clip if OOB. offset
/* (d1,vc1,d0,vc0)=(0,0,3,0) */
_v_add_co_u32 v4, vcc, v0, 48                      // coord0.1: coord0 += d0*sg0*VW + vc0
v_cmp_lt_u32 s[54:55], v4, s[sgprSizeI]            // coord0 < size0
v_cmp_lt_u32 s[58:59], v1, s[sgprSizeJ]            // coord1 < size1
s_and_b64 s[58:59], s[54:55], s[58:59]             // in0 && in1
_v_add_lshl_u32 v21, v2, v4, 0x1                   // scaleToBpe: accumulate d0 lower and *= bpe into Cin addr
v_cndmask_b32 v21, -1, v21, s[58:59]               // LDC clip if OOB. offset
_buffer_load_b64 v[28:29], v21, s[sgprSrdC:sgprSrdC+3], 0, offen offset:0 // load C for beta calc
_v_add_lshl_u32 v21, v3, v4, 0x1                   // scaleToBpe: accumulate d0 lower and *= bpe into Cin addr
v_cndmask_b32 v21, -1, v21, s[58:59]               // LDD clip if OOB. offset
	;; [unrolled: 10-line block ×3, first 2 shown]
/* (d1,vc1,d0,vc0)=(0,0,5,0) */
s_mov_b32 s54, 80                                  // coordOffset0 d0=5 vc0=0
_v_add_co_u32 v4, vcc, v0, s54                     // coord0.2: coord0 += d0*sg0*VW + vc0
v_cmp_lt_u32 s[54:55], v4, s[sgprSizeI]            // coord0 < size0
v_cmp_lt_u32 s[58:59], v1, s[sgprSizeJ]            // coord1 < size1
s_and_b64 s[58:59], s[54:55], s[58:59]             // in0 && in1
_v_add_lshl_u32 v31, v2, v4, 0x1                   // scaleToBpe: accumulate d0 lower and *= bpe into Cin addr
v_cndmask_b32 v31, -1, v31, s[58:59]               // LDC clip if OOB. offset
_buffer_load_b64 v[38:39], v31, s[sgprSrdC:sgprSrdC+3], 0, offen offset:0 // load C for beta calc
_v_add_lshl_u32 v31, v3, v4, 0x1                   // scaleToBpe: accumulate d0 lower and *= bpe into Cin addr
v_cndmask_b32 v31, -1, v31, s[58:59]               // LDD clip if OOB. offset
/* (d1,vc1,d0,vc0)=(0,0,6,0) */
s_mov_b32 s54, 96                                  // coordOffset0 d0=6 vc0=0
_v_add_co_u32 v4, vcc, v0, s54                     // coord0.2: coord0 += d0*sg0*VW + vc0
v_cmp_lt_u32 s[54:55], v4, s[sgprSizeI]            // coord0 < size0
v_cmp_lt_u32 s[58:59], v1, s[sgprSizeJ]            // coord1 < size1
s_and_b64 s[58:59], s[54:55], s[58:59]             // in0 && in1
_v_add_lshl_u32 v48, v2, v4, 0x1                   // scaleToBpe: accumulate d0 lower and *= bpe into Cin addr
v_cndmask_b32 v48, -1, v48, s[58:59]               // LDC clip if OOB. offset
_buffer_load_b64 v[50:51], v48, s[sgprSrdC:sgprSrdC+3], 0, offen offset:0 // load C for beta calc
_v_add_lshl_u32 v48, v3, v4, 0x1                   // scaleToBpe: accumulate d0 lower and *= bpe into Cin addr
v_cndmask_b32 v48, -1, v48, s[58:59]               // LDD clip if OOB. offset
/* (d1,vc1,d0,vc0)=(0,0,7,0) */
s_mov_b32 s54, 112                                 // coordOffset0 d0=7 vc0=0
_v_add_co_u32 v4, vcc, v0, s54                     // coord0.2: coord0 += d0*sg0*VW + vc0
v_cmp_lt_u32 s[54:55], v4, s[sgprSizeI]            // coord0 < size0
v_cmp_lt_u32 s[58:59], v1, s[sgprSizeJ]            // coord1 < size1
s_and_b64 s[58:59], s[54:55], s[58:59]             // in0 && in1
_v_add_lshl_u32 v49, v2, v4, 0x1                   // scaleToBpe: accumulate d0 lower and *= bpe into Cin addr
v_cndmask_b32 v49, -1, v49, s[58:59]               // LDC clip if OOB. offset
_buffer_load_b64 v[56:57], v49, s[sgprSrdC:sgprSrdC+3], 0, offen offset:0 // load C for beta calc
_v_add_lshl_u32 v49, v3, v4, 0x1                   // scaleToBpe: accumulate d0 lower and *= bpe into Cin addr
v_cndmask_b32 v49, -1, v49, s[58:59]               // LDD clip if OOB. offset
/* (d1,vc1,d0,vc0)=(0,0,8,0) */
s_mov_b32 s54, 128                                 // coordOffset0 d0=8 vc0=0
_v_add_co_u32 v4, vcc, v0, s54                     // coord0.2: coord0 += d0*sg0*VW + vc0
v_cmp_lt_u32 s[54:55], v4, s[sgprSizeI]            // coord0 < size0
v_cmp_lt_u32 s[58:59], v1, s[sgprSizeJ]            // coord1 < size1
s_and_b64 s[58:59], s[54:55], s[58:59]             // in0 && in1
_v_add_lshl_u32 v58, v2, v4, 0x1                   // scaleToBpe: accumulate d0 lower and *= bpe into Cin addr
v_cndmask_b32 v58, -1, v58, s[58:59]               // LDC clip if OOB. offset
_buffer_load_b64 v[64:65], v58, s[sgprSrdC:sgprSrdC+3], 0, offen offset:0 // load C for beta calc
_v_add_lshl_u32 v58, v3, v4, 0x1                   // scaleToBpe: accumulate d0 lower and *= bpe into Cin addr
v_cndmask_b32 v58, -1, v58, s[58:59]               // LDD clip if OOB. offset
/* (d1,vc1,d0,vc0)=(0,1,0,0) */
_v_add_co_u32 v1, vcc, v1, 1                       // coord1.1: coord1Vgpr += d1*sg1*VW + vc1

/* Fix for UseInitialStridesCD, emitAddressSetupCode */
_v_add_u32 v2, v2, s[sgprStrideC1J]                // ROWINC- Move cinRowPtr to next row
_v_add_u32 v3, v3, s[sgprStrideD1J]                // Move coutRowPtr to next row
v_cmp_lt_u32 s[54:55], v0, s[sgprSizeI]            // coord0 < size0
v_cmp_lt_u32 s[58:59], v1, s[sgprSizeJ]            // coord1 < size1
s_and_b64 s[58:59], s[54:55], s[58:59]             // in0 && in1
_v_add_lshl_u32 v59, v2, v0, 0x1                   // scaleToBpe: accumulate d0 lower and *= bpe into Cin addr
v_cndmask_b32 v59, -1, v59, s[58:59]               // LDC clip if OOB. offset
_buffer_load_b64 v[66:67], v59, s[sgprSrdC:sgprSrdC+3], 0, offen offset:0 // load C for beta calc
_v_add_lshl_u32 v59, v3, v0, 0x1                   // scaleToBpe: accumulate d0 lower and *= bpe into Cin addr
v_cndmask_b32 v59, -1, v59, s[58:59]               // LDD clip if OOB. offset
/* (d1,vc1,d0,vc0)=(0,1,1,0) */
_v_add_co_u32 v4, vcc, v0, 16                      // coord0.1: coord0 += d0*sg0*VW + vc0
v_cmp_lt_u32 s[54:55], v4, s[sgprSizeI]            // coord0 < size0
v_cmp_lt_u32 s[58:59], v1, s[sgprSizeJ]            // coord1 < size1
s_and_b64 s[58:59], s[54:55], s[58:59]             // in0 && in1
_v_add_lshl_u32 v76, v2, v4, 0x1                   // scaleToBpe: accumulate d0 lower and *= bpe into Cin addr
v_cndmask_b32 v76, -1, v76, s[58:59]               // LDC clip if OOB. offset
_buffer_load_b64 v[78:79], v76, s[sgprSrdC:sgprSrdC+3], 0, offen offset:0 // load C for beta calc
_v_add_lshl_u32 v76, v3, v4, 0x1                   // scaleToBpe: accumulate d0 lower and *= bpe into Cin addr
v_cndmask_b32 v76, -1, v76, s[58:59]               // LDD clip if OOB. offset
/* (d1,vc1,d0,vc0)=(0,1,2,0) */
_v_add_co_u32 v4, vcc, v0, 32                      // coord0.1: coord0 += d0*sg0*VW + vc0
	;; [unrolled: 10-line block ×4, first 2 shown]
v_cmp_lt_u32 s[54:55], v4, s[sgprSizeI]            // coord0 < size0
v_cmp_lt_u32 s[58:59], v1, s[sgprSizeJ]            // coord1 < size1
s_and_b64 s[58:59], s[54:55], s[58:59]             // in0 && in1
_v_add_lshl_u32 v87, v2, v4, 0x1                   // scaleToBpe: accumulate d0 lower and *= bpe into Cin addr
v_cndmask_b32 v87, -1, v87, s[58:59]               // LDC clip if OOB. offset
_buffer_load_b64 v[94:95], v87, s[sgprSrdC:sgprSrdC+3], 0, offen offset:0 // load C for beta calc
_v_add_lshl_u32 v87, v3, v4, 0x1                   // scaleToBpe: accumulate d0 lower and *= bpe into Cin addr
v_cndmask_b32 v87, -1, v87, s[58:59]               // LDD clip if OOB. offset
/* (d1,vc1,d0,vc0)=(0,1,5,0) */
s_mov_b32 s54, 80                                  // coordOffset0 d0=5 vc0=0
_v_add_co_u32 v4, vcc, v0, s54                     // coord0.2: coord0 += d0*sg0*VW + vc0
v_cmp_lt_u32 s[54:55], v4, s[sgprSizeI]            // coord0 < size0
v_cmp_lt_u32 s[58:59], v1, s[sgprSizeJ]            // coord1 < size1
s_and_b64 s[58:59], s[54:55], s[58:59]             // in0 && in1
_v_add_lshl_u32 v104, v2, v4, 0x1                  // scaleToBpe: accumulate d0 lower and *= bpe into Cin addr
v_cndmask_b32 v104, -1, v104, s[58:59]             // LDC clip if OOB. offset
_buffer_load_b64 v[106:107], v104, s[sgprSrdC:sgprSrdC+3], 0, offen offset:0 // load C for beta calc
_v_add_lshl_u32 v104, v3, v4, 0x1                  // scaleToBpe: accumulate d0 lower and *= bpe into Cin addr
v_cndmask_b32 v104, -1, v104, s[58:59]             // LDD clip if OOB. offset
/* (d1,vc1,d0,vc0)=(0,1,6,0) */
s_mov_b32 s54, 96                                  // coordOffset0 d0=6 vc0=0
_v_add_co_u32 v4, vcc, v0, s54                     // coord0.2: coord0 += d0*sg0*VW + vc0
v_cmp_lt_u32 s[54:55], v4, s[sgprSizeI]            // coord0 < size0
v_cmp_lt_u32 s[58:59], v1, s[sgprSizeJ]            // coord1 < size1
s_and_b64 s[58:59], s[54:55], s[58:59]             // in0 && in1
_v_add_lshl_u32 v105, v2, v4, 0x1                  // scaleToBpe: accumulate d0 lower and *= bpe into Cin addr
v_cndmask_b32 v105, -1, v105, s[58:59]             // LDC clip if OOB. offset
_buffer_load_b64 v[112:113], v105, s[sgprSrdC:sgprSrdC+3], 0, offen offset:0 // load C for beta calc
_v_add_lshl_u32 v105, v3, v4, 0x1                  // scaleToBpe: accumulate d0 lower and *= bpe into Cin addr
v_cndmask_b32 v105, -1, v105, s[58:59]             // LDD clip if OOB. offset
/* (d1,vc1,d0,vc0)=(0,1,7,0) */
s_mov_b32 s54, 112                                 // coordOffset0 d0=7 vc0=0
_v_add_co_u32 v4, vcc, v0, s54                     // coord0.2: coord0 += d0*sg0*VW + vc0
v_cmp_lt_u32 s[54:55], v4, s[sgprSizeI]            // coord0 < size0
v_cmp_lt_u32 s[58:59], v1, s[sgprSizeJ]            // coord1 < size1
s_and_b64 s[58:59], s[54:55], s[58:59]             // in0 && in1
_v_add_lshl_u32 v114, v2, v4, 0x1                  // scaleToBpe: accumulate d0 lower and *= bpe into Cin addr
v_cndmask_b32 v114, -1, v114, s[58:59]             // LDC clip if OOB. offset
_buffer_load_b64 v[120:121], v114, s[sgprSrdC:sgprSrdC+3], 0, offen offset:0 // load C for beta calc
_v_add_lshl_u32 v114, v3, v4, 0x1                  // scaleToBpe: accumulate d0 lower and *= bpe into Cin addr
v_cndmask_b32 v114, -1, v114, s[58:59]             // LDD clip if OOB. offset
/* (d1,vc1,d0,vc0)=(0,1,8,0) */
s_mov_b32 s54, 128                                 // coordOffset0 d0=8 vc0=0
_v_add_co_u32 v4, vcc, v0, s54                     // coord0.2: coord0 += d0*sg0*VW + vc0
v_cmp_lt_u32 s[54:55], v4, s[sgprSizeI]            // coord0 < size0
v_cmp_lt_u32 s[58:59], v1, s[sgprSizeJ]            // coord1 < size1
s_and_b64 s[58:59], s[54:55], s[58:59]             // in0 && in1
_v_add_lshl_u32 v115, v2, v4, 0x1                  // scaleToBpe: accumulate d0 lower and *= bpe into Cin addr
v_cndmask_b32 v115, -1, v115, s[58:59]             // LDC clip if OOB. offset
_buffer_load_b64 v[122:123], v115, s[sgprSrdC:sgprSrdC+3], 0, offen offset:0 // load C for beta calc
_v_add_lshl_u32 v115, v3, v4, 0x1                  // scaleToBpe: accumulate d0 lower and *= bpe into Cin addr
v_cndmask_b32 v115, -1, v115, s[58:59]             // LDD clip if OOB. offset
/* (d1,vc1,d0,vc0)=(1,0,0,0) */
s_mov_b32 s54, 127                                 // rowInc d1=0 vc1=0
_v_add_co_u32 v1, vcc, v1, s54                     // coord1.2: coord1 += d1*sg1*VW + vc1

/* Fix for UseInitialStridesCD, emitAddressSetupCode */
s_mul_i32 s54, s[sgprStrideC1J], 127               // scale stride
_v_add_u32 v2, v2, s54                             // ROWINC- Move cinRowPtr to next row
s_mul_i32 s54, s[sgprStrideD1J], 127               // scale stride
_v_add_u32 v3, v3, s54                             // Move coutRowPtr to next row
v_cmp_lt_u32 s[54:55], v0, s[sgprSizeI]            // coord0 < size0
v_cmp_lt_u32 s[58:59], v1, s[sgprSizeJ]            // coord1 < size1
s_and_b64 s[58:59], s[54:55], s[58:59]             // in0 && in1
_v_add_lshl_u32 v132, v2, v0, 0x1                  // scaleToBpe: accumulate d0 lower and *= bpe into Cin addr
v_cndmask_b32 v132, -1, v132, s[58:59]             // LDC clip if OOB. offset
_buffer_load_b64 v[134:135], v132, s[sgprSrdC:sgprSrdC+3], 0, offen offset:0 // load C for beta calc
_v_add_lshl_u32 v132, v3, v0, 0x1                  // scaleToBpe: accumulate d0 lower and *= bpe into Cin addr
v_cndmask_b32 v132, -1, v132, s[58:59]             // LDD clip if OOB. offset
/* (d1,vc1,d0,vc0)=(1,0,1,0) */
_v_add_co_u32 v4, vcc, v0, 16                      // coord0.1: coord0 += d0*sg0*VW + vc0
v_cmp_lt_u32 s[54:55], v4, s[sgprSizeI]            // coord0 < size0
v_cmp_lt_u32 s[58:59], v1, s[sgprSizeJ]            // coord1 < size1
s_and_b64 s[58:59], s[54:55], s[58:59]             // in0 && in1
_v_add_lshl_u32 v133, v2, v4, 0x1                  // scaleToBpe: accumulate d0 lower and *= bpe into Cin addr
v_cndmask_b32 v133, -1, v133, s[58:59]             // LDC clip if OOB. offset
_buffer_load_b64 v[140:141], v133, s[sgprSrdC:sgprSrdC+3], 0, offen offset:0 // load C for beta calc
_v_add_lshl_u32 v133, v3, v4, 0x1                  // scaleToBpe: accumulate d0 lower and *= bpe into Cin addr
v_cndmask_b32 v133, -1, v133, s[58:59]             // LDD clip if OOB. offset
/* (d1,vc1,d0,vc0)=(1,0,2,0) */
_v_add_co_u32 v4, vcc, v0, 32                      // coord0.1: coord0 += d0*sg0*VW + vc0
	;; [unrolled: 10-line block ×4, first 2 shown]
v_cmp_lt_u32 s[54:55], v4, s[sgprSizeI]            // coord0 < size0
v_cmp_lt_u32 s[58:59], v1, s[sgprSizeJ]            // coord1 < size1
s_and_b64 s[58:59], s[54:55], s[58:59]             // in0 && in1
_v_add_lshl_u32 v160, v2, v4, 0x1                  // scaleToBpe: accumulate d0 lower and *= bpe into Cin addr
v_cndmask_b32 v160, -1, v160, s[58:59]             // LDC clip if OOB. offset
_buffer_load_b64 v[162:163], v160, s[sgprSrdC:sgprSrdC+3], 0, offen offset:0 // load C for beta calc
_v_add_lshl_u32 v160, v3, v4, 0x1                  // scaleToBpe: accumulate d0 lower and *= bpe into Cin addr
v_cndmask_b32 v160, -1, v160, s[58:59]             // LDD clip if OOB. offset
/* (d1,vc1,d0,vc0)=(1,0,5,0) */
s_mov_b32 s54, 80                                  // coordOffset0 d0=5 vc0=0
_v_add_co_u32 v4, vcc, v0, s54                     // coord0.2: coord0 += d0*sg0*VW + vc0
v_cmp_lt_u32 s[54:55], v4, s[sgprSizeI]            // coord0 < size0
v_cmp_lt_u32 s[58:59], v1, s[sgprSizeJ]            // coord1 < size1
s_and_b64 s[58:59], s[54:55], s[58:59]             // in0 && in1
_v_add_lshl_u32 v161, v2, v4, 0x1                  // scaleToBpe: accumulate d0 lower and *= bpe into Cin addr
v_cndmask_b32 v161, -1, v161, s[58:59]             // LDC clip if OOB. offset
_buffer_load_b64 v[168:169], v161, s[sgprSrdC:sgprSrdC+3], 0, offen offset:0 // load C for beta calc
_v_add_lshl_u32 v161, v3, v4, 0x1                  // scaleToBpe: accumulate d0 lower and *= bpe into Cin addr
v_cndmask_b32 v161, -1, v161, s[58:59]             // LDD clip if OOB. offset
/* (d1,vc1,d0,vc0)=(1,0,6,0) */
s_mov_b32 s54, 96                                  // coordOffset0 d0=6 vc0=0
_v_add_co_u32 v4, vcc, v0, s54                     // coord0.2: coord0 += d0*sg0*VW + vc0
v_cmp_lt_u32 s[54:55], v4, s[sgprSizeI]            // coord0 < size0
v_cmp_lt_u32 s[58:59], v1, s[sgprSizeJ]            // coord1 < size1
s_and_b64 s[58:59], s[54:55], s[58:59]             // in0 && in1
_v_add_lshl_u32 v170, v2, v4, 0x1                  // scaleToBpe: accumulate d0 lower and *= bpe into Cin addr
v_cndmask_b32 v170, -1, v170, s[58:59]             // LDC clip if OOB. offset
_buffer_load_b64 v[176:177], v170, s[sgprSrdC:sgprSrdC+3], 0, offen offset:0 // load C for beta calc
_v_add_lshl_u32 v170, v3, v4, 0x1                  // scaleToBpe: accumulate d0 lower and *= bpe into Cin addr
v_cndmask_b32 v170, -1, v170, s[58:59]             // LDD clip if OOB. offset
/* (d1,vc1,d0,vc0)=(1,0,7,0) */
s_mov_b32 s54, 112                                 // coordOffset0 d0=7 vc0=0
_v_add_co_u32 v4, vcc, v0, s54                     // coord0.2: coord0 += d0*sg0*VW + vc0
v_cmp_lt_u32 s[54:55], v4, s[sgprSizeI]            // coord0 < size0
v_cmp_lt_u32 s[58:59], v1, s[sgprSizeJ]            // coord1 < size1
s_and_b64 s[58:59], s[54:55], s[58:59]             // in0 && in1
_v_add_lshl_u32 v171, v2, v4, 0x1                  // scaleToBpe: accumulate d0 lower and *= bpe into Cin addr
v_cndmask_b32 v171, -1, v171, s[58:59]             // LDC clip if OOB. offset
_buffer_load_b64 v[178:179], v171, s[sgprSrdC:sgprSrdC+3], 0, offen offset:0 // load C for beta calc
_v_add_lshl_u32 v171, v3, v4, 0x1                  // scaleToBpe: accumulate d0 lower and *= bpe into Cin addr
v_cndmask_b32 v171, -1, v171, s[58:59]             // LDD clip if OOB. offset
/* (d1,vc1,d0,vc0)=(1,0,8,0) */
s_mov_b32 s54, 128                                 // coordOffset0 d0=8 vc0=0
_v_add_co_u32 v4, vcc, v0, s54                     // coord0.2: coord0 += d0*sg0*VW + vc0
v_cmp_lt_u32 s[54:55], v4, s[sgprSizeI]            // coord0 < size0
v_cmp_lt_u32 s[58:59], v1, s[sgprSizeJ]            // coord1 < size1
s_and_b64 s[58:59], s[54:55], s[58:59]             // in0 && in1
_v_add_lshl_u32 v188, v2, v4, 0x1                  // scaleToBpe: accumulate d0 lower and *= bpe into Cin addr
v_cndmask_b32 v188, -1, v188, s[58:59]             // LDC clip if OOB. offset
_buffer_load_b64 v[190:191], v188, s[sgprSrdC:sgprSrdC+3], 0, offen offset:0 // load C for beta calc
_v_add_lshl_u32 v188, v3, v4, 0x1                  // scaleToBpe: accumulate d0 lower and *= bpe into Cin addr
v_cndmask_b32 v188, -1, v188, s[58:59]             // LDD clip if OOB. offset
/* (d1,vc1,d0,vc0)=(1,1,0,0) */
_v_add_co_u32 v1, vcc, v1, 1                       // coord1.1: coord1Vgpr += d1*sg1*VW + vc1

/* Fix for UseInitialStridesCD, emitAddressSetupCode */
_v_add_u32 v2, v2, s[sgprStrideC1J]                // ROWINC- Move cinRowPtr to next row
_v_add_u32 v3, v3, s[sgprStrideD1J]                // Move coutRowPtr to next row
v_cmp_lt_u32 s[54:55], v0, s[sgprSizeI]            // coord0 < size0
v_cmp_lt_u32 s[58:59], v1, s[sgprSizeJ]            // coord1 < size1
s_and_b64 s[58:59], s[54:55], s[58:59]             // in0 && in1
_v_add_lshl_u32 v189, v2, v0, 0x1                  // scaleToBpe: accumulate d0 lower and *= bpe into Cin addr
v_cndmask_b32 v189, -1, v189, s[58:59]             // LDC clip if OOB. offset
_buffer_load_b64 v[196:197], v189, s[sgprSrdC:sgprSrdC+3], 0, offen offset:0 // load C for beta calc
_v_add_lshl_u32 v189, v3, v0, 0x1                  // scaleToBpe: accumulate d0 lower and *= bpe into Cin addr
v_cndmask_b32 v189, -1, v189, s[58:59]             // LDD clip if OOB. offset
/* (d1,vc1,d0,vc0)=(1,1,1,0) */
_v_add_co_u32 v4, vcc, v0, 16                      // coord0.1: coord0 += d0*sg0*VW + vc0
v_cmp_lt_u32 s[54:55], v4, s[sgprSizeI]            // coord0 < size0
v_cmp_lt_u32 s[58:59], v1, s[sgprSizeJ]            // coord1 < size1
s_and_b64 s[58:59], s[54:55], s[58:59]             // in0 && in1
_v_add_lshl_u32 v198, v2, v4, 0x1                  // scaleToBpe: accumulate d0 lower and *= bpe into Cin addr
v_cndmask_b32 v198, -1, v198, s[58:59]             // LDC clip if OOB. offset
_buffer_load_b64 v[204:205], v198, s[sgprSrdC:sgprSrdC+3], 0, offen offset:0 // load C for beta calc
_v_add_lshl_u32 v198, v3, v4, 0x1                  // scaleToBpe: accumulate d0 lower and *= bpe into Cin addr
v_cndmask_b32 v198, -1, v198, s[58:59]             // LDD clip if OOB. offset
/* (d1,vc1,d0,vc0)=(1,1,2,0) */
_v_add_co_u32 v4, vcc, v0, 32                      // coord0.1: coord0 += d0*sg0*VW + vc0
	;; [unrolled: 10-line block ×4, first 2 shown]
v_cmp_lt_u32 s[54:55], v4, s[sgprSizeI]            // coord0 < size0
v_cmp_lt_u32 s[58:59], v1, s[sgprSizeJ]            // coord1 < size1
s_and_b64 s[58:59], s[54:55], s[58:59]             // in0 && in1
_v_add_lshl_u32 v222, v2, v4, 0x1                  // scaleToBpe: accumulate d0 lower and *= bpe into Cin addr
v_cndmask_b32 v222, -1, v222, s[58:59]             // LDC clip if OOB. offset
_buffer_load_b64 v[228:229], v222, s[sgprSrdC:sgprSrdC+3], 0, offen offset:0 // load C for beta calc
_v_add_lshl_u32 v222, v3, v4, 0x1                  // scaleToBpe: accumulate d0 lower and *= bpe into Cin addr
v_cndmask_b32 v222, -1, v222, s[58:59]             // LDD clip if OOB. offset
/* (d1,vc1,d0,vc0)=(1,1,5,0) */
s_mov_b32 s54, 80                                  // coordOffset0 d0=5 vc0=0
_v_add_co_u32 v4, vcc, v0, s54                     // coord0.2: coord0 += d0*sg0*VW + vc0
v_cmp_lt_u32 s[54:55], v4, s[sgprSizeI]            // coord0 < size0
v_cmp_lt_u32 s[58:59], v1, s[sgprSizeJ]            // coord1 < size1
s_and_b64 s[58:59], s[54:55], s[58:59]             // in0 && in1
_v_add_lshl_u32 v223, v2, v4, 0x1                  // scaleToBpe: accumulate d0 lower and *= bpe into Cin addr
v_cndmask_b32 v223, -1, v223, s[58:59]             // LDC clip if OOB. offset
_buffer_load_b64 v[230:231], v223, s[sgprSrdC:sgprSrdC+3], 0, offen offset:0 // load C for beta calc
_v_add_lshl_u32 v223, v3, v4, 0x1                  // scaleToBpe: accumulate d0 lower and *= bpe into Cin addr
v_cndmask_b32 v223, -1, v223, s[58:59]             // LDD clip if OOB. offset
/* (d1,vc1,d0,vc0)=(1,1,6,0) */
s_mov_b32 s54, 96                                  // coordOffset0 d0=6 vc0=0
_v_add_co_u32 v4, vcc, v0, s54                     // coord0.2: coord0 += d0*sg0*VW + vc0
v_cmp_lt_u32 s[54:55], v4, s[sgprSizeI]            // coord0 < size0
v_cmp_lt_u32 s[58:59], v1, s[sgprSizeJ]            // coord1 < size1
s_and_b64 s[58:59], s[54:55], s[58:59]             // in0 && in1
_v_add_lshl_u32 v240, v2, v4, 0x1                  // scaleToBpe: accumulate d0 lower and *= bpe into Cin addr
v_cndmask_b32 v240, -1, v240, s[58:59]             // LDC clip if OOB. offset
_buffer_load_b64 v[242:243], v240, s[sgprSrdC:sgprSrdC+3], 0, offen offset:0 // load C for beta calc
_v_add_lshl_u32 v240, v3, v4, 0x1                  // scaleToBpe: accumulate d0 lower and *= bpe into Cin addr
v_cndmask_b32 v240, -1, v240, s[58:59]             // LDD clip if OOB. offset
v_accvgpr_read_b32 v[vgprValuC+12], acc0 // copy acc to vreg[0]
v_accvgpr_read_b32 v[vgprValuC+13], acc1 // copy acc to vreg[1]
v_accvgpr_read_b32 v[vgprValuC+14], acc2 // copy acc to vreg[2]
v_accvgpr_read_b32 v[vgprValuC+15], acc3 // copy acc to vreg[3]
v_accvgpr_read_b32 v[vgprValuC+16], acc4 // copy acc to vreg[4]
v_accvgpr_read_b32 v[vgprValuC+17], acc5 // copy acc to vreg[5]
v_accvgpr_read_b32 v[vgprValuC+18], acc6 // copy acc to vreg[6]
v_accvgpr_read_b32 v[vgprValuC+19], acc7 // copy acc to vreg[7]
v_accvgpr_read_b32 v[vgprValuC+24], acc8 // copy acc to vreg[8]
v_accvgpr_read_b32 v[vgprValuC+25], acc9 // copy acc to vreg[9]
v_accvgpr_read_b32 v[vgprValuC+26], acc10 // copy acc to vreg[10]
v_accvgpr_read_b32 v[vgprValuC+27], acc11 // copy acc to vreg[11]
v_accvgpr_read_b32 v[vgprValuC+32], acc12 // copy acc to vreg[12]
v_accvgpr_read_b32 v[vgprValuC+33], acc13 // copy acc to vreg[13]
v_accvgpr_read_b32 v[vgprValuC+34], acc14 // copy acc to vreg[14]
v_accvgpr_read_b32 v[vgprValuC+35], acc15 // copy acc to vreg[15]
v_accvgpr_read_b32 v[vgprValuC+40], acc16 // copy acc to vreg[16]
v_accvgpr_read_b32 v[vgprValuC+41], acc17 // copy acc to vreg[17]
v_accvgpr_read_b32 v[vgprValuC+42], acc18 // copy acc to vreg[18]
v_accvgpr_read_b32 v[vgprValuC+43], acc19 // copy acc to vreg[19]
v_accvgpr_read_b32 v[vgprValuC+44], acc20 // copy acc to vreg[20]
v_accvgpr_read_b32 v[vgprValuC+45], acc21 // copy acc to vreg[21]
v_accvgpr_read_b32 v[vgprValuC+46], acc22 // copy acc to vreg[22]
v_accvgpr_read_b32 v[vgprValuC+47], acc23 // copy acc to vreg[23]
v_accvgpr_read_b32 v[vgprValuC+52], acc24 // copy acc to vreg[24]
v_accvgpr_read_b32 v[vgprValuC+53], acc25 // copy acc to vreg[25]
v_accvgpr_read_b32 v[vgprValuC+54], acc26 // copy acc to vreg[26]
v_accvgpr_read_b32 v[vgprValuC+55], acc27 // copy acc to vreg[27]
v_accvgpr_read_b32 v[vgprValuC+60], acc28 // copy acc to vreg[28]
v_accvgpr_read_b32 v[vgprValuC+61], acc29 // copy acc to vreg[29]
v_accvgpr_read_b32 v[vgprValuC+62], acc30 // copy acc to vreg[30]
v_accvgpr_read_b32 v[vgprValuC+63], acc31 // copy acc to vreg[31]
v_accvgpr_read_b32 v[vgprValuC+68], acc32 // copy acc to vreg[32]
v_accvgpr_read_b32 v[vgprValuC+69], acc33 // copy acc to vreg[33]
v_accvgpr_read_b32 v[vgprValuC+70], acc34 // copy acc to vreg[34]
v_accvgpr_read_b32 v[vgprValuC+71], acc35 // copy acc to vreg[35]
v_accvgpr_read_b32 v[vgprValuC+72], acc36 // copy acc to vreg[36]
v_accvgpr_read_b32 v[vgprValuC+73], acc37 // copy acc to vreg[37]
v_accvgpr_read_b32 v[vgprValuC+74], acc38 // copy acc to vreg[38]
v_accvgpr_read_b32 v[vgprValuC+75], acc39 // copy acc to vreg[39]
v_accvgpr_read_b32 v[vgprValuC+80], acc40 // copy acc to vreg[40]
v_accvgpr_read_b32 v[vgprValuC+81], acc41 // copy acc to vreg[41]
v_accvgpr_read_b32 v[vgprValuC+82], acc42 // copy acc to vreg[42]
v_accvgpr_read_b32 v[vgprValuC+83], acc43 // copy acc to vreg[43]
v_accvgpr_read_b32 v[vgprValuC+88], acc44 // copy acc to vreg[44]
v_accvgpr_read_b32 v[vgprValuC+89], acc45 // copy acc to vreg[45]
v_accvgpr_read_b32 v[vgprValuC+90], acc46 // copy acc to vreg[46]
v_accvgpr_read_b32 v[vgprValuC+91], acc47 // copy acc to vreg[47]
v_accvgpr_read_b32 v[vgprValuC+96], acc48 // copy acc to vreg[48]
v_accvgpr_read_b32 v[vgprValuC+97], acc49 // copy acc to vreg[49]
v_accvgpr_read_b32 v[vgprValuC+98], acc50 // copy acc to vreg[50]
v_accvgpr_read_b32 v[vgprValuC+99], acc51 // copy acc to vreg[51]
v_accvgpr_read_b32 v[vgprValuC+100], acc52 // copy acc to vreg[52]
v_accvgpr_read_b32 v[vgprValuC+101], acc53 // copy acc to vreg[53]
v_accvgpr_read_b32 v[vgprValuC+102], acc54 // copy acc to vreg[54]
v_accvgpr_read_b32 v[vgprValuC+103], acc55 // copy acc to vreg[55]
v_accvgpr_read_b32 v[vgprValuC+108], acc56 // copy acc to vreg[56]
v_accvgpr_read_b32 v[vgprValuC+109], acc57 // copy acc to vreg[57]
v_accvgpr_read_b32 v[vgprValuC+110], acc58 // copy acc to vreg[58]
v_accvgpr_read_b32 v[vgprValuC+111], acc59 // copy acc to vreg[59]
v_accvgpr_read_b32 v[vgprValuC+116], acc60 // copy acc to vreg[60]
v_accvgpr_read_b32 v[vgprValuC+117], acc61 // copy acc to vreg[61]
v_accvgpr_read_b32 v[vgprValuC+118], acc62 // copy acc to vreg[62]
v_accvgpr_read_b32 v[vgprValuC+119], acc63 // copy acc to vreg[63]
v_accvgpr_read_b32 v[vgprValuC+124], acc64 // copy acc to vreg[64]
v_accvgpr_read_b32 v[vgprValuC+125], acc65 // copy acc to vreg[65]
v_accvgpr_read_b32 v[vgprValuC+126], acc66 // copy acc to vreg[66]
v_accvgpr_read_b32 v[vgprValuC+127], acc67 // copy acc to vreg[67]
v_accvgpr_read_b32 v[vgprValuC+128], acc68 // copy acc to vreg[68]
v_accvgpr_read_b32 v[vgprValuC+129], acc69 // copy acc to vreg[69]
v_accvgpr_read_b32 v[vgprValuC+130], acc70 // copy acc to vreg[70]
v_accvgpr_read_b32 v[vgprValuC+131], acc71 // copy acc to vreg[71]
v_accvgpr_read_b32 v[vgprValuC+136], acc72 // copy acc to vreg[72]
v_accvgpr_read_b32 v[vgprValuC+137], acc73 // copy acc to vreg[73]
v_accvgpr_read_b32 v[vgprValuC+138], acc74 // copy acc to vreg[74]
v_accvgpr_read_b32 v[vgprValuC+139], acc75 // copy acc to vreg[75]
v_accvgpr_read_b32 v[vgprValuC+144], acc76 // copy acc to vreg[76]
v_accvgpr_read_b32 v[vgprValuC+145], acc77 // copy acc to vreg[77]
v_accvgpr_read_b32 v[vgprValuC+146], acc78 // copy acc to vreg[78]
v_accvgpr_read_b32 v[vgprValuC+147], acc79 // copy acc to vreg[79]
v_accvgpr_read_b32 v[vgprValuC+152], acc80 // copy acc to vreg[80]
v_accvgpr_read_b32 v[vgprValuC+153], acc81 // copy acc to vreg[81]
v_accvgpr_read_b32 v[vgprValuC+154], acc82 // copy acc to vreg[82]
v_accvgpr_read_b32 v[vgprValuC+155], acc83 // copy acc to vreg[83]
v_accvgpr_read_b32 v[vgprValuC+156], acc84 // copy acc to vreg[84]
v_accvgpr_read_b32 v[vgprValuC+157], acc85 // copy acc to vreg[85]
v_accvgpr_read_b32 v[vgprValuC+158], acc86 // copy acc to vreg[86]
v_accvgpr_read_b32 v[vgprValuC+159], acc87 // copy acc to vreg[87]
v_accvgpr_read_b32 v[vgprValuC+164], acc88 // copy acc to vreg[88]
v_accvgpr_read_b32 v[vgprValuC+165], acc89 // copy acc to vreg[89]
v_accvgpr_read_b32 v[vgprValuC+166], acc90 // copy acc to vreg[90]
v_accvgpr_read_b32 v[vgprValuC+167], acc91 // copy acc to vreg[91]
v_accvgpr_read_b32 v[vgprValuC+172], acc92 // copy acc to vreg[92]
v_accvgpr_read_b32 v[vgprValuC+173], acc93 // copy acc to vreg[93]
v_accvgpr_read_b32 v[vgprValuC+174], acc94 // copy acc to vreg[94]
v_accvgpr_read_b32 v[vgprValuC+175], acc95 // copy acc to vreg[95]
v_accvgpr_read_b32 v[vgprValuC+180], acc96 // copy acc to vreg[96]
v_accvgpr_read_b32 v[vgprValuC+181], acc97 // copy acc to vreg[97]
v_accvgpr_read_b32 v[vgprValuC+182], acc98 // copy acc to vreg[98]
v_accvgpr_read_b32 v[vgprValuC+183], acc99 // copy acc to vreg[99]
v_accvgpr_read_b32 v[vgprValuC+184], acc100 // copy acc to vreg[100]
v_accvgpr_read_b32 v[vgprValuC+185], acc101 // copy acc to vreg[101]
v_accvgpr_read_b32 v[vgprValuC+186], acc102 // copy acc to vreg[102]
v_accvgpr_read_b32 v[vgprValuC+187], acc103 // copy acc to vreg[103]
v_accvgpr_read_b32 v[vgprValuC+192], acc104 // copy acc to vreg[104]
v_accvgpr_read_b32 v[vgprValuC+193], acc105 // copy acc to vreg[105]
v_accvgpr_read_b32 v[vgprValuC+194], acc106 // copy acc to vreg[106]
v_accvgpr_read_b32 v[vgprValuC+195], acc107 // copy acc to vreg[107]
v_accvgpr_read_b32 v[vgprValuC+200], acc108 // copy acc to vreg[108]
v_accvgpr_read_b32 v[vgprValuC+201], acc109 // copy acc to vreg[109]
v_accvgpr_read_b32 v[vgprValuC+202], acc110 // copy acc to vreg[110]
v_accvgpr_read_b32 v[vgprValuC+203], acc111 // copy acc to vreg[111]
v_accvgpr_read_b32 v[vgprValuC+212], acc112 // copy acc to vreg[112]
v_accvgpr_read_b32 v[vgprValuC+213], acc113 // copy acc to vreg[113]
v_accvgpr_read_b32 v[vgprValuC+214], acc114 // copy acc to vreg[114]
v_accvgpr_read_b32 v[vgprValuC+215], acc115 // copy acc to vreg[115]
v_accvgpr_read_b32 v[vgprValuC+216], acc116 // copy acc to vreg[116]
v_accvgpr_read_b32 v[vgprValuC+217], acc117 // copy acc to vreg[117]
v_accvgpr_read_b32 v[vgprValuC+218], acc118 // copy acc to vreg[118]
v_accvgpr_read_b32 v[vgprValuC+219], acc119 // copy acc to vreg[119]
v_accvgpr_read_b32 v[vgprValuC+224], acc120 // copy acc to vreg[120]
v_accvgpr_read_b32 v[vgprValuC+225], acc121 // copy acc to vreg[121]
v_accvgpr_read_b32 v[vgprValuC+226], acc122 // copy acc to vreg[122]
v_accvgpr_read_b32 v[vgprValuC+227], acc123 // copy acc to vreg[123]
v_accvgpr_read_b32 v[vgprValuC+232], acc124 // copy acc to vreg[124]
v_accvgpr_read_b32 v[vgprValuC+233], acc125 // copy acc to vreg[125]
v_accvgpr_read_b32 v[vgprValuC+234], acc126 // copy acc to vreg[126]
v_accvgpr_read_b32 v[vgprValuC+235], acc127 // copy acc to vreg[127]
v_accvgpr_read_b32 v[vgprValuC+236], acc128 // copy acc to vreg[128]
v_accvgpr_read_b32 v[vgprValuC+237], acc129 // copy acc to vreg[129]
v_accvgpr_read_b32 v[vgprValuC+238], acc130 // copy acc to vreg[130]
v_accvgpr_read_b32 v[vgprValuC+239], acc131 // copy acc to vreg[131]
v_accvgpr_read_b32 v[vgprValuC+244], acc132 // copy acc to vreg[132]
v_accvgpr_read_b32 v[vgprValuC+245], acc133 // copy acc to vreg[133]
v_accvgpr_read_b32 v[vgprValuC+246], acc134 // copy acc to vreg[134]
v_accvgpr_read_b32 v[vgprValuC+247], acc135 // copy acc to vreg[135]
s_nop 1                                            // 2 wait states required before reading vgpr

/* rC *= alpha batchElements=[(0, 0, 0, 0), (0, 1, 0, 0), (0, 2, 0, 0), (0, 3, 0, 0), (0, 4, 0, 0), (0, 5, 0, 0), (0, 6, 0, 0), (0, 7, 0, 0), (0, 8, 0, 0), (0, 0, 1, 0), (0, 1, 1, 0), (0, 2, 1, 0), (0, 3, 1, 0), (0, 4, 1, 0), (0, 5, 1, 0), (0, 6, 1, 0), (0, 7, 1, 0), (0, 8, 1, 0), (1, 0, 0, 0), (1, 1, 0, 0), (1, 2, 0, 0), (1, 3, 0, 0), (1, 4, 0, 0), (1, 5, 0, 0), (1, 6, 0, 0), (1, 7, 0, 0), (1, 8, 0, 0), (1, 0, 1, 0), (1, 1, 1, 0), (1, 2, 1, 0), (1, 3, 1, 0), (1, 4, 1, 0), (1, 5, 1, 0), (1, 6, 1, 0)] */
v_mul_f32 v[vgprValuC+12], s[sgprAlpha], v[vgprValuC+12] // *= alpha
v_mul_f32 v[vgprValuC+13], s[sgprAlpha], v[vgprValuC+13] // *= alpha
v_mul_f32 v[vgprValuC+14], s[sgprAlpha], v[vgprValuC+14] // *= alpha
v_mul_f32 v[vgprValuC+15], s[sgprAlpha], v[vgprValuC+15] // *= alpha
v_mul_f32 v[vgprValuC+16], s[sgprAlpha], v[vgprValuC+16] // *= alpha
v_mul_f32 v[vgprValuC+17], s[sgprAlpha], v[vgprValuC+17] // *= alpha
v_mul_f32 v[vgprValuC+18], s[sgprAlpha], v[vgprValuC+18] // *= alpha
v_mul_f32 v[vgprValuC+19], s[sgprAlpha], v[vgprValuC+19] // *= alpha
v_mul_f32 v[vgprValuC+24], s[sgprAlpha], v[vgprValuC+24] // *= alpha
v_mul_f32 v[vgprValuC+25], s[sgprAlpha], v[vgprValuC+25] // *= alpha
v_mul_f32 v[vgprValuC+26], s[sgprAlpha], v[vgprValuC+26] // *= alpha
v_mul_f32 v[vgprValuC+27], s[sgprAlpha], v[vgprValuC+27] // *= alpha
v_mul_f32 v[vgprValuC+32], s[sgprAlpha], v[vgprValuC+32] // *= alpha
v_mul_f32 v[vgprValuC+33], s[sgprAlpha], v[vgprValuC+33] // *= alpha
v_mul_f32 v[vgprValuC+34], s[sgprAlpha], v[vgprValuC+34] // *= alpha
v_mul_f32 v[vgprValuC+35], s[sgprAlpha], v[vgprValuC+35] // *= alpha
v_mul_f32 v[vgprValuC+40], s[sgprAlpha], v[vgprValuC+40] // *= alpha
v_mul_f32 v[vgprValuC+41], s[sgprAlpha], v[vgprValuC+41] // *= alpha
v_mul_f32 v[vgprValuC+42], s[sgprAlpha], v[vgprValuC+42] // *= alpha
v_mul_f32 v[vgprValuC+43], s[sgprAlpha], v[vgprValuC+43] // *= alpha
v_mul_f32 v[vgprValuC+44], s[sgprAlpha], v[vgprValuC+44] // *= alpha
v_mul_f32 v[vgprValuC+45], s[sgprAlpha], v[vgprValuC+45] // *= alpha
v_mul_f32 v[vgprValuC+46], s[sgprAlpha], v[vgprValuC+46] // *= alpha
v_mul_f32 v[vgprValuC+47], s[sgprAlpha], v[vgprValuC+47] // *= alpha
v_mul_f32 v[vgprValuC+52], s[sgprAlpha], v[vgprValuC+52] // *= alpha
v_mul_f32 v[vgprValuC+53], s[sgprAlpha], v[vgprValuC+53] // *= alpha
v_mul_f32 v[vgprValuC+54], s[sgprAlpha], v[vgprValuC+54] // *= alpha
v_mul_f32 v[vgprValuC+55], s[sgprAlpha], v[vgprValuC+55] // *= alpha
v_mul_f32 v[vgprValuC+60], s[sgprAlpha], v[vgprValuC+60] // *= alpha
v_mul_f32 v[vgprValuC+61], s[sgprAlpha], v[vgprValuC+61] // *= alpha
v_mul_f32 v[vgprValuC+62], s[sgprAlpha], v[vgprValuC+62] // *= alpha
v_mul_f32 v[vgprValuC+63], s[sgprAlpha], v[vgprValuC+63] // *= alpha
v_mul_f32 v[vgprValuC+68], s[sgprAlpha], v[vgprValuC+68] // *= alpha
v_mul_f32 v[vgprValuC+69], s[sgprAlpha], v[vgprValuC+69] // *= alpha
v_mul_f32 v[vgprValuC+70], s[sgprAlpha], v[vgprValuC+70] // *= alpha
v_mul_f32 v[vgprValuC+71], s[sgprAlpha], v[vgprValuC+71] // *= alpha
v_mul_f32 v[vgprValuC+72], s[sgprAlpha], v[vgprValuC+72] // *= alpha
v_mul_f32 v[vgprValuC+73], s[sgprAlpha], v[vgprValuC+73] // *= alpha
v_mul_f32 v[vgprValuC+74], s[sgprAlpha], v[vgprValuC+74] // *= alpha
v_mul_f32 v[vgprValuC+75], s[sgprAlpha], v[vgprValuC+75] // *= alpha
v_mul_f32 v[vgprValuC+80], s[sgprAlpha], v[vgprValuC+80] // *= alpha
v_mul_f32 v[vgprValuC+81], s[sgprAlpha], v[vgprValuC+81] // *= alpha
v_mul_f32 v[vgprValuC+82], s[sgprAlpha], v[vgprValuC+82] // *= alpha
v_mul_f32 v[vgprValuC+83], s[sgprAlpha], v[vgprValuC+83] // *= alpha
v_mul_f32 v[vgprValuC+88], s[sgprAlpha], v[vgprValuC+88] // *= alpha
v_mul_f32 v[vgprValuC+89], s[sgprAlpha], v[vgprValuC+89] // *= alpha
v_mul_f32 v[vgprValuC+90], s[sgprAlpha], v[vgprValuC+90] // *= alpha
v_mul_f32 v[vgprValuC+91], s[sgprAlpha], v[vgprValuC+91] // *= alpha
v_mul_f32 v[vgprValuC+96], s[sgprAlpha], v[vgprValuC+96] // *= alpha
v_mul_f32 v[vgprValuC+97], s[sgprAlpha], v[vgprValuC+97] // *= alpha
v_mul_f32 v[vgprValuC+98], s[sgprAlpha], v[vgprValuC+98] // *= alpha
v_mul_f32 v[vgprValuC+99], s[sgprAlpha], v[vgprValuC+99] // *= alpha
v_mul_f32 v[vgprValuC+100], s[sgprAlpha], v[vgprValuC+100] // *= alpha
v_mul_f32 v[vgprValuC+101], s[sgprAlpha], v[vgprValuC+101] // *= alpha
v_mul_f32 v[vgprValuC+102], s[sgprAlpha], v[vgprValuC+102] // *= alpha
v_mul_f32 v[vgprValuC+103], s[sgprAlpha], v[vgprValuC+103] // *= alpha
v_mul_f32 v[vgprValuC+108], s[sgprAlpha], v[vgprValuC+108] // *= alpha
v_mul_f32 v[vgprValuC+109], s[sgprAlpha], v[vgprValuC+109] // *= alpha
v_mul_f32 v[vgprValuC+110], s[sgprAlpha], v[vgprValuC+110] // *= alpha
v_mul_f32 v[vgprValuC+111], s[sgprAlpha], v[vgprValuC+111] // *= alpha
v_mul_f32 v[vgprValuC+116], s[sgprAlpha], v[vgprValuC+116] // *= alpha
v_mul_f32 v[vgprValuC+117], s[sgprAlpha], v[vgprValuC+117] // *= alpha
v_mul_f32 v[vgprValuC+118], s[sgprAlpha], v[vgprValuC+118] // *= alpha
v_mul_f32 v[vgprValuC+119], s[sgprAlpha], v[vgprValuC+119] // *= alpha
v_mul_f32 v[vgprValuC+124], s[sgprAlpha], v[vgprValuC+124] // *= alpha
v_mul_f32 v[vgprValuC+125], s[sgprAlpha], v[vgprValuC+125] // *= alpha
v_mul_f32 v[vgprValuC+126], s[sgprAlpha], v[vgprValuC+126] // *= alpha
v_mul_f32 v[vgprValuC+127], s[sgprAlpha], v[vgprValuC+127] // *= alpha
v_mul_f32 v[vgprValuC+128], s[sgprAlpha], v[vgprValuC+128] // *= alpha
v_mul_f32 v[vgprValuC+129], s[sgprAlpha], v[vgprValuC+129] // *= alpha
v_mul_f32 v[vgprValuC+130], s[sgprAlpha], v[vgprValuC+130] // *= alpha
v_mul_f32 v[vgprValuC+131], s[sgprAlpha], v[vgprValuC+131] // *= alpha
v_mul_f32 v[vgprValuC+136], s[sgprAlpha], v[vgprValuC+136] // *= alpha
v_mul_f32 v[vgprValuC+137], s[sgprAlpha], v[vgprValuC+137] // *= alpha
v_mul_f32 v[vgprValuC+138], s[sgprAlpha], v[vgprValuC+138] // *= alpha
v_mul_f32 v[vgprValuC+139], s[sgprAlpha], v[vgprValuC+139] // *= alpha
v_mul_f32 v[vgprValuC+144], s[sgprAlpha], v[vgprValuC+144] // *= alpha
v_mul_f32 v[vgprValuC+145], s[sgprAlpha], v[vgprValuC+145] // *= alpha
v_mul_f32 v[vgprValuC+146], s[sgprAlpha], v[vgprValuC+146] // *= alpha
v_mul_f32 v[vgprValuC+147], s[sgprAlpha], v[vgprValuC+147] // *= alpha
v_mul_f32 v[vgprValuC+152], s[sgprAlpha], v[vgprValuC+152] // *= alpha
v_mul_f32 v[vgprValuC+153], s[sgprAlpha], v[vgprValuC+153] // *= alpha
v_mul_f32 v[vgprValuC+154], s[sgprAlpha], v[vgprValuC+154] // *= alpha
v_mul_f32 v[vgprValuC+155], s[sgprAlpha], v[vgprValuC+155] // *= alpha
v_mul_f32 v[vgprValuC+156], s[sgprAlpha], v[vgprValuC+156] // *= alpha
v_mul_f32 v[vgprValuC+157], s[sgprAlpha], v[vgprValuC+157] // *= alpha
v_mul_f32 v[vgprValuC+158], s[sgprAlpha], v[vgprValuC+158] // *= alpha
v_mul_f32 v[vgprValuC+159], s[sgprAlpha], v[vgprValuC+159] // *= alpha
v_mul_f32 v[vgprValuC+164], s[sgprAlpha], v[vgprValuC+164] // *= alpha
v_mul_f32 v[vgprValuC+165], s[sgprAlpha], v[vgprValuC+165] // *= alpha
v_mul_f32 v[vgprValuC+166], s[sgprAlpha], v[vgprValuC+166] // *= alpha
v_mul_f32 v[vgprValuC+167], s[sgprAlpha], v[vgprValuC+167] // *= alpha
v_mul_f32 v[vgprValuC+172], s[sgprAlpha], v[vgprValuC+172] // *= alpha
v_mul_f32 v[vgprValuC+173], s[sgprAlpha], v[vgprValuC+173] // *= alpha
v_mul_f32 v[vgprValuC+174], s[sgprAlpha], v[vgprValuC+174] // *= alpha
v_mul_f32 v[vgprValuC+175], s[sgprAlpha], v[vgprValuC+175] // *= alpha
v_mul_f32 v[vgprValuC+180], s[sgprAlpha], v[vgprValuC+180] // *= alpha
v_mul_f32 v[vgprValuC+181], s[sgprAlpha], v[vgprValuC+181] // *= alpha
v_mul_f32 v[vgprValuC+182], s[sgprAlpha], v[vgprValuC+182] // *= alpha
v_mul_f32 v[vgprValuC+183], s[sgprAlpha], v[vgprValuC+183] // *= alpha
v_mul_f32 v[vgprValuC+184], s[sgprAlpha], v[vgprValuC+184] // *= alpha
v_mul_f32 v[vgprValuC+185], s[sgprAlpha], v[vgprValuC+185] // *= alpha
v_mul_f32 v[vgprValuC+186], s[sgprAlpha], v[vgprValuC+186] // *= alpha
v_mul_f32 v[vgprValuC+187], s[sgprAlpha], v[vgprValuC+187] // *= alpha
v_mul_f32 v[vgprValuC+192], s[sgprAlpha], v[vgprValuC+192] // *= alpha
v_mul_f32 v[vgprValuC+193], s[sgprAlpha], v[vgprValuC+193] // *= alpha
v_mul_f32 v[vgprValuC+194], s[sgprAlpha], v[vgprValuC+194] // *= alpha
v_mul_f32 v[vgprValuC+195], s[sgprAlpha], v[vgprValuC+195] // *= alpha
v_mul_f32 v[vgprValuC+200], s[sgprAlpha], v[vgprValuC+200] // *= alpha
v_mul_f32 v[vgprValuC+201], s[sgprAlpha], v[vgprValuC+201] // *= alpha
v_mul_f32 v[vgprValuC+202], s[sgprAlpha], v[vgprValuC+202] // *= alpha
v_mul_f32 v[vgprValuC+203], s[sgprAlpha], v[vgprValuC+203] // *= alpha
v_mul_f32 v[vgprValuC+212], s[sgprAlpha], v[vgprValuC+212] // *= alpha
v_mul_f32 v[vgprValuC+213], s[sgprAlpha], v[vgprValuC+213] // *= alpha
v_mul_f32 v[vgprValuC+214], s[sgprAlpha], v[vgprValuC+214] // *= alpha
v_mul_f32 v[vgprValuC+215], s[sgprAlpha], v[vgprValuC+215] // *= alpha
v_mul_f32 v[vgprValuC+216], s[sgprAlpha], v[vgprValuC+216] // *= alpha
v_mul_f32 v[vgprValuC+217], s[sgprAlpha], v[vgprValuC+217] // *= alpha
v_mul_f32 v[vgprValuC+218], s[sgprAlpha], v[vgprValuC+218] // *= alpha
v_mul_f32 v[vgprValuC+219], s[sgprAlpha], v[vgprValuC+219] // *= alpha
v_mul_f32 v[vgprValuC+224], s[sgprAlpha], v[vgprValuC+224] // *= alpha
v_mul_f32 v[vgprValuC+225], s[sgprAlpha], v[vgprValuC+225] // *= alpha
v_mul_f32 v[vgprValuC+226], s[sgprAlpha], v[vgprValuC+226] // *= alpha
v_mul_f32 v[vgprValuC+227], s[sgprAlpha], v[vgprValuC+227] // *= alpha
v_mul_f32 v[vgprValuC+232], s[sgprAlpha], v[vgprValuC+232] // *= alpha
v_mul_f32 v[vgprValuC+233], s[sgprAlpha], v[vgprValuC+233] // *= alpha
v_mul_f32 v[vgprValuC+234], s[sgprAlpha], v[vgprValuC+234] // *= alpha
v_mul_f32 v[vgprValuC+235], s[sgprAlpha], v[vgprValuC+235] // *= alpha
v_mul_f32 v[vgprValuC+236], s[sgprAlpha], v[vgprValuC+236] // *= alpha
v_mul_f32 v[vgprValuC+237], s[sgprAlpha], v[vgprValuC+237] // *= alpha
v_mul_f32 v[vgprValuC+238], s[sgprAlpha], v[vgprValuC+238] // *= alpha
v_mul_f32 v[vgprValuC+239], s[sgprAlpha], v[vgprValuC+239] // *= alpha
v_mul_f32 v[vgprValuC+244], s[sgprAlpha], v[vgprValuC+244] // *= alpha
v_mul_f32 v[vgprValuC+245], s[sgprAlpha], v[vgprValuC+245] // *= alpha
v_mul_f32 v[vgprValuC+246], s[sgprAlpha], v[vgprValuC+246] // *= alpha
v_mul_f32 v[vgprValuC+247], s[sgprAlpha], v[vgprValuC+247] // *= alpha
s_waitcnt vmcnt(0)                                 // wait C

/* apply mask, calc new C and issue writes */
v_fma_mix_f32 v[vgprValuC+12], s[sgprBeta], v8, v[vgprValuC+12], op_sel:[0,0,0] op_sel_hi:[0,1,0] // //C*=beta
v_fma_mix_f32 v[vgprValuC+13], s[sgprBeta], v8, v[vgprValuC+13], op_sel:[0,1,0] op_sel_hi:[0,1,0] // //C*=beta
v_fma_mix_f32 v[vgprValuC+14], s[sgprBeta], v9, v[vgprValuC+14], op_sel:[0,0,0] op_sel_hi:[0,1,0] // //C*=beta
v_fma_mix_f32 v[vgprValuC+15], s[sgprBeta], v9, v[vgprValuC+15], op_sel:[0,1,0] op_sel_hi:[0,1,0] // //C*=beta
v_cvt_f16_f32 v[vgprValuC+12], v[vgprValuC+12]     // convert C to fp16
v_cvt_f16_f32 v[vgprValuC+13], v[vgprValuC+13]     // convert C to fp16
v_pack_b32_f16 v12, v[vgprValuC+12], v[vgprValuC+13] // Pack with neighbor
v_cvt_f16_f32 v[vgprValuC+14], v[vgprValuC+14]     // convert C to fp16
v_cvt_f16_f32 v[vgprValuC+15], v[vgprValuC+15]     // convert C to fp16
v_pack_b32_f16 v13, v[vgprValuC+14], v[vgprValuC+15] // Pack with neighbor
_buffer_store_b64 v[12:13], v6, s[sgprSrdD:sgprSrdD+3], 0, offen, offset:0 // store D
v_fma_mix_f32 v[vgprValuC+16], s[sgprBeta], v10, v[vgprValuC+16], op_sel:[0,0,0] op_sel_hi:[0,1,0] // //C*=beta
v_fma_mix_f32 v[vgprValuC+17], s[sgprBeta], v10, v[vgprValuC+17], op_sel:[0,1,0] op_sel_hi:[0,1,0] // //C*=beta
v_fma_mix_f32 v[vgprValuC+18], s[sgprBeta], v11, v[vgprValuC+18], op_sel:[0,0,0] op_sel_hi:[0,1,0] // //C*=beta
v_fma_mix_f32 v[vgprValuC+19], s[sgprBeta], v11, v[vgprValuC+19], op_sel:[0,1,0] op_sel_hi:[0,1,0] // //C*=beta
v_cvt_f16_f32 v[vgprValuC+16], v[vgprValuC+16]     // convert C to fp16
v_cvt_f16_f32 v[vgprValuC+17], v[vgprValuC+17]     // convert C to fp16
v_pack_b32_f16 v16, v[vgprValuC+16], v[vgprValuC+17] // Pack with neighbor
v_cvt_f16_f32 v[vgprValuC+18], v[vgprValuC+18]     // convert C to fp16
v_cvt_f16_f32 v[vgprValuC+19], v[vgprValuC+19]     // convert C to fp16
v_pack_b32_f16 v17, v[vgprValuC+18], v[vgprValuC+19] // Pack with neighbor
_buffer_store_b64 v[16:17], v7, s[sgprSrdD:sgprSrdD+3], 0, offen, offset:0 // store D
	;; [unrolled: 11-line block ×13, first 2 shown]
v_fma_mix_f32 v[vgprValuC+100], s[sgprBeta], v94, v[vgprValuC+100], op_sel:[0,0,0] op_sel_hi:[0,1,0] // //C*=beta
v_fma_mix_f32 v[vgprValuC+101], s[sgprBeta], v94, v[vgprValuC+101], op_sel:[0,1,0] op_sel_hi:[0,1,0] // //C*=beta
v_fma_mix_f32 v[vgprValuC+102], s[sgprBeta], v95, v[vgprValuC+102], op_sel:[0,0,0] op_sel_hi:[0,1,0] // //C*=beta
v_fma_mix_f32 v[vgprValuC+103], s[sgprBeta], v95, v[vgprValuC+103], op_sel:[0,1,0] op_sel_hi:[0,1,0] // //C*=beta
v_cvt_f16_f32 v[vgprValuC+100], v[vgprValuC+100]   // convert C to fp16
v_cvt_f16_f32 v[vgprValuC+101], v[vgprValuC+101]   // convert C to fp16
v_pack_b32_f16 v100, v[vgprValuC+100], v[vgprValuC+101] // Pack with neighbor
v_cvt_f16_f32 v[vgprValuC+102], v[vgprValuC+102]   // convert C to fp16
v_cvt_f16_f32 v[vgprValuC+103], v[vgprValuC+103]   // convert C to fp16
v_pack_b32_f16 v101, v[vgprValuC+102], v[vgprValuC+103] // Pack with neighbor
_buffer_store_b64 v[100:101], v87, s[sgprSrdD:sgprSrdD+3], 0, offen, offset:0 // store D
v_fma_mix_f32 v[vgprValuC+108], s[sgprBeta], v106, v[vgprValuC+108], op_sel:[0,0,0] op_sel_hi:[0,1,0] // //C*=beta
v_fma_mix_f32 v[vgprValuC+109], s[sgprBeta], v106, v[vgprValuC+109], op_sel:[0,1,0] op_sel_hi:[0,1,0] // //C*=beta
v_fma_mix_f32 v[vgprValuC+110], s[sgprBeta], v107, v[vgprValuC+110], op_sel:[0,0,0] op_sel_hi:[0,1,0] // //C*=beta
v_fma_mix_f32 v[vgprValuC+111], s[sgprBeta], v107, v[vgprValuC+111], op_sel:[0,1,0] op_sel_hi:[0,1,0] // //C*=beta
v_cvt_f16_f32 v[vgprValuC+108], v[vgprValuC+108]   // convert C to fp16
v_cvt_f16_f32 v[vgprValuC+109], v[vgprValuC+109]   // convert C to fp16
v_pack_b32_f16 v108, v[vgprValuC+108], v[vgprValuC+109] // Pack with neighbor
v_cvt_f16_f32 v[vgprValuC+110], v[vgprValuC+110]   // convert C to fp16
v_cvt_f16_f32 v[vgprValuC+111], v[vgprValuC+111]   // convert C to fp16
v_pack_b32_f16 v109, v[vgprValuC+110], v[vgprValuC+111] // Pack with neighbor
_buffer_store_b64 v[108:109], v104, s[sgprSrdD:sgprSrdD+3], 0, offen, offset:0 // store D
	;; [unrolled: 11-line block ×21, first 2 shown]
s_nop 0                                            // 1 wait state required when next inst writes vgprs held by previous dwordx4 store inst
/* optSingleColVgpr=0 optSharedColVgpr=0 optSGPRUsage=BufferLoad_Edge_Mask optSrdIncForRow=0 */

/******************************************/
/* Global Write Alpha Beta Edge Batch #1 (d1,d0,vc1,vc0) = */
/*    (1,7,1,0:vw4); (1,8,1,0:vw4)        */
/******************************************/

/* calc coords, apply mask, and issue loads (if necessary) */
/* (d1,vc1,d0,vc0)=(1,1,7,0) */
s_mov_b32 s54, 112                                 // coordOffset0 d0=7 vc0=0
_v_add_co_u32 v4, vcc, v0, s54                     // coord0.2: coord0 += d0*sg0*VW + vc0
v_cmp_lt_u32 s[54:55], v4, s[sgprSizeI]            // coord0 < size0
v_cmp_lt_u32 s[58:59], v1, s[sgprSizeJ]            // coord1 < size1
s_and_b64 s[58:59], s[54:55], s[58:59]             // in0 && in1
_v_add_lshl_u32 v6, v2, v4, 0x1                    // scaleToBpe: accumulate d0 lower and *= bpe into Cin addr
v_cndmask_b32 v6, -1, v6, s[58:59]                 // LDC clip if OOB. offset
_buffer_load_b64 v[8:9], v6, s[sgprSrdC:sgprSrdC+3], 0, offen offset:0 // load C for beta calc
_v_add_lshl_u32 v6, v3, v4, 0x1                    // scaleToBpe: accumulate d0 lower and *= bpe into Cin addr
v_cndmask_b32 v6, -1, v6, s[58:59]                 // LDD clip if OOB. offset
/* (d1,vc1,d0,vc0)=(1,1,8,0) */
s_mov_b32 s54, 128                                 // coordOffset0 d0=8 vc0=0
_v_add_co_u32 v4, vcc, v0, s54                     // coord0.2: coord0 += d0*sg0*VW + vc0
v_cmp_lt_u32 s[54:55], v4, s[sgprSizeI]            // coord0 < size0
v_cmp_lt_u32 s[58:59], v1, s[sgprSizeJ]            // coord1 < size1
s_and_b64 s[58:59], s[54:55], s[58:59]             // in0 && in1
_v_add_lshl_u32 v7, v2, v4, 0x1                    // scaleToBpe: accumulate d0 lower and *= bpe into Cin addr
v_cndmask_b32 v7, -1, v7, s[58:59]                 // LDC clip if OOB. offset
_buffer_load_b64 v[10:11], v7, s[sgprSrdC:sgprSrdC+3], 0, offen offset:0 // load C for beta calc
_v_add_lshl_u32 v7, v3, v4, 0x1                    // scaleToBpe: accumulate d0 lower and *= bpe into Cin addr
v_cndmask_b32 v7, -1, v7, s[58:59]                 // LDD clip if OOB. offset
v_accvgpr_read_b32 v[vgprValuC+12], acc136 // copy acc to vreg[136]
v_accvgpr_read_b32 v[vgprValuC+13], acc137 // copy acc to vreg[137]
v_accvgpr_read_b32 v[vgprValuC+14], acc138 // copy acc to vreg[138]
v_accvgpr_read_b32 v[vgprValuC+15], acc139 // copy acc to vreg[139]
v_accvgpr_read_b32 v[vgprValuC+16], acc140 // copy acc to vreg[140]
v_accvgpr_read_b32 v[vgprValuC+17], acc141 // copy acc to vreg[141]
v_accvgpr_read_b32 v[vgprValuC+18], acc142 // copy acc to vreg[142]
v_accvgpr_read_b32 v[vgprValuC+19], acc143 // copy acc to vreg[143]
s_nop 1                                            // 2 wait states required before reading vgpr

/* rC *= alpha batchElements=[(1, 7, 1, 0), (1, 8, 1, 0)] */
v_mul_f32 v[vgprValuC+12], s[sgprAlpha], v[vgprValuC+12] // *= alpha
v_mul_f32 v[vgprValuC+13], s[sgprAlpha], v[vgprValuC+13] // *= alpha
	;; [unrolled: 1-line block ×8, first 2 shown]
s_waitcnt vmcnt(0)                                 // wait C

/* apply mask, calc new C and issue writes */
v_fma_mix_f32 v[vgprValuC+12], s[sgprBeta], v8, v[vgprValuC+12], op_sel:[0,0,0] op_sel_hi:[0,1,0] // //C*=beta
v_fma_mix_f32 v[vgprValuC+13], s[sgprBeta], v8, v[vgprValuC+13], op_sel:[0,1,0] op_sel_hi:[0,1,0] // //C*=beta
	;; [unrolled: 1-line block ×4, first 2 shown]
v_cvt_f16_f32 v[vgprValuC+12], v[vgprValuC+12]     // convert C to fp16
v_cvt_f16_f32 v[vgprValuC+13], v[vgprValuC+13]     // convert C to fp16
v_pack_b32_f16 v12, v[vgprValuC+12], v[vgprValuC+13] // Pack with neighbor
v_cvt_f16_f32 v[vgprValuC+14], v[vgprValuC+14]     // convert C to fp16
v_cvt_f16_f32 v[vgprValuC+15], v[vgprValuC+15]     // convert C to fp16
v_pack_b32_f16 v13, v[vgprValuC+14], v[vgprValuC+15] // Pack with neighbor
_buffer_store_b64 v[12:13], v6, s[sgprSrdD:sgprSrdD+3], 0, offen, offset:0 // store D
v_fma_mix_f32 v[vgprValuC+16], s[sgprBeta], v10, v[vgprValuC+16], op_sel:[0,0,0] op_sel_hi:[0,1,0] // //C*=beta
v_fma_mix_f32 v[vgprValuC+17], s[sgprBeta], v10, v[vgprValuC+17], op_sel:[0,1,0] op_sel_hi:[0,1,0] // //C*=beta
	;; [unrolled: 1-line block ×4, first 2 shown]
v_cvt_f16_f32 v[vgprValuC+16], v[vgprValuC+16]     // convert C to fp16
v_cvt_f16_f32 v[vgprValuC+17], v[vgprValuC+17]     // convert C to fp16
v_pack_b32_f16 v16, v[vgprValuC+16], v[vgprValuC+17] // Pack with neighbor
v_cvt_f16_f32 v[vgprValuC+18], v[vgprValuC+18]     // convert C to fp16
v_cvt_f16_f32 v[vgprValuC+19], v[vgprValuC+19]     // convert C to fp16
v_pack_b32_f16 v17, v[vgprValuC+18], v[vgprValuC+19] // Pack with neighbor
_buffer_store_b64 v[16:17], v7, s[sgprSrdD:sgprSrdD+3], 0, offen, offset:0 // store D
s_nop 0                                            // 1 wait state required when next inst writes vgprs held by previous dwordx4 store inst
s_branch label_GW_End_42                           // jump to end
label_GW_End_42:

label_0047:  /// KernelEnd
s_endpgm                                           // Kernel End

